;; amdgpu-corpus repo=ROCm/rocBLAS kind=compiled arch=gfx90a opt=O3
	.text
	.amdgcn_target "amdgcn-amd-amdhsa--gfx90a"
	.amdhsa_code_object_version 6
	.section	.text._ZL20rocblas_tpmvn_kernelILi512EPKfPfS2_EvbbiT0_llT1_lllT2_li,"axG",@progbits,_ZL20rocblas_tpmvn_kernelILi512EPKfPfS2_EvbbiT0_llT1_lllT2_li,comdat
	.globl	_ZL20rocblas_tpmvn_kernelILi512EPKfPfS2_EvbbiT0_llT1_lllT2_li ; -- Begin function _ZL20rocblas_tpmvn_kernelILi512EPKfPfS2_EvbbiT0_llT1_lllT2_li
	.p2align	8
	.type	_ZL20rocblas_tpmvn_kernelILi512EPKfPfS2_EvbbiT0_llT1_lllT2_li,@function
_ZL20rocblas_tpmvn_kernelILi512EPKfPfS2_EvbbiT0_llT1_lllT2_li: ; @_ZL20rocblas_tpmvn_kernelILi512EPKfPfS2_EvbbiT0_llT1_lllT2_li
; %bb.0:
	s_load_dword s0, s[4:5], 0x64
	s_load_dwordx2 s[2:3], s[4:5], 0x0
	s_waitcnt lgkmcnt(0)
	s_and_b32 s0, s0, 0xffff
	s_mul_i32 s6, s6, s0
	v_add_u32_e32 v0, s6, v0
	v_cmp_gt_i32_e32 vcc, s3, v0
	s_and_saveexec_b64 s[0:1], vcc
	s_cbranch_execz .LBB0_18
; %bb.1:
	s_load_dword s0, s[4:5], 0x0
	s_load_dwordx16 s[8:23], s[4:5], 0x8
	v_ashrrev_i32_e32 v1, 31, v0
	s_waitcnt lgkmcnt(0)
	s_and_b32 s28, s0, 1
	s_mul_i32 s6, s7, s13
	s_mul_hi_u32 s13, s7, s12
	s_bitcmp1_b32 s2, 8
	s_cselect_b64 s[0:1], -1, 0
	s_add_i32 s13, s13, s6
	s_mul_i32 s12, s7, s12
	s_xor_b64 s[0:1], s[0:1], -1
	s_lshl_b64 s[24:25], s[12:13], 2
	s_add_u32 s2, s8, s24
	s_addc_u32 s6, s9, s25
	s_lshl_b64 s[26:27], s[10:11], 2
	s_add_u32 s2, s2, s26
	s_mul_i32 s10, s7, s21
	s_mul_hi_u32 s11, s7, s20
	s_addc_u32 s6, s6, s27
	s_add_i32 s11, s11, s10
	s_mul_i32 s10, s7, s20
	s_lshl_b64 s[10:11], s[10:11], 2
	s_add_u32 s20, s14, s10
	s_addc_u32 s21, s15, s11
	s_lshl_b64 s[12:13], s[16:17], 2
	s_add_u32 s16, s20, s12
	s_addc_u32 s17, s21, s13
	v_mul_lo_u32 v4, v0, s19
	v_mul_lo_u32 v5, v1, s18
	v_mad_u64_u32 v[2:3], s[20:21], v0, s18, 0
	v_add3_u32 v3, v3, v4, v5
	v_lshlrev_b64 v[2:3], 2, v[2:3]
	v_mov_b32_e32 v4, s17
	v_add_co_u32_e32 v2, vcc, s16, v2
	v_addc_co_u32_e32 v3, vcc, v4, v3, vcc
	global_load_dword v8, v[2:3], off
	v_cndmask_b32_e64 v2, 0, 1, s[0:1]
	s_mov_b64 s[20:21], -1
	s_cmp_eq_u32 s28, 0
	v_cmp_ne_u32_e64 s[0:1], 1, v2
	s_cbranch_scc0 .LBB0_9
; %bb.2:
	s_and_b64 vcc, exec, s[0:1]
	s_waitcnt vmcnt(0)
	v_mov_b32_e32 v4, v8
	s_cbranch_vccnz .LBB0_4
; %bb.3:
	v_add_co_u32_e32 v4, vcc, -1, v0
	v_addc_co_u32_e32 v5, vcc, -1, v1, vcc
	v_mul_lo_u32 v6, v5, v0
	v_mul_lo_u32 v7, v4, v1
	v_mad_u64_u32 v[4:5], s[20:21], v4, v0, 0
	v_add3_u32 v5, v5, v7, v6
	v_mad_i64_i32 v[2:3], s[20:21], v0, s3, 0
	v_lshrrev_b64 v[4:5], 1, v[4:5]
	v_sub_co_u32_e32 v2, vcc, v2, v4
	v_subb_co_u32_e32 v3, vcc, v3, v5, vcc
	v_lshlrev_b64 v[2:3], 2, v[2:3]
	v_mov_b32_e32 v4, s6
	v_add_co_u32_e32 v2, vcc, s2, v2
	v_addc_co_u32_e32 v3, vcc, v4, v3, vcc
	global_load_dword v2, v[2:3], off
	s_waitcnt vmcnt(0)
	v_mul_f32_e32 v4, v8, v2
.LBB0_4:
	v_cmp_lt_i32_e32 vcc, 0, v0
	s_and_saveexec_b64 s[20:21], vcc
	s_cbranch_execz .LBB0_8
; %bb.5:
	s_ashr_i32 s29, s3, 31
	s_add_u32 s24, s24, s26
	s_addc_u32 s25, s25, s27
	s_add_u32 s8, s8, s24
	s_mov_b32 s28, s3
	v_lshlrev_b64 v[2:3], 2, v[0:1]
	s_addc_u32 s9, s9, s25
	v_mov_b32_e32 v5, s9
	v_add_co_u32_e32 v2, vcc, s8, v2
	s_lshl_b64 s[8:9], s[28:29], 2
	s_add_u32 s33, s8, -4
	s_addc_u32 s26, s9, -1
	v_addc_co_u32_e32 v3, vcc, v5, v3, vcc
	s_lshl_b64 s[24:25], s[18:19], 2
	s_mov_b64 s[8:9], 0
	v_mov_b32_e32 v5, s26
	s_mov_b64 s[26:27], 0
	s_mov_b64 s[30:31], 0
	;; [unrolled: 1-line block ×3, first 2 shown]
.LBB0_6:                                ; =>This Inner Loop Header: Depth=1
	s_lshl_b64 s[34:35], s[26:27], 1
	s_and_b32 s34, s34, -4
	v_mov_b32_e32 v7, s35
	v_subrev_co_u32_e32 v6, vcc, s34, v2
	v_subb_co_u32_e32 v7, vcc, v3, v7, vcc
	global_load_dword v6, v[6:7], off
	s_add_u32 s28, s28, 1
	s_addc_u32 s29, s29, 0
	s_add_u32 s34, s30, 2
	s_load_dword s36, s[16:17], 0x0
	s_addc_u32 s35, s31, 0
	s_add_u32 s26, s26, s30
	v_add_co_u32_e32 v2, vcc, s33, v2
	s_addc_u32 s27, s27, s31
	v_addc_co_u32_e32 v3, vcc, v3, v5, vcc
	s_add_u32 s16, s16, s24
	v_cmp_eq_u32_e32 vcc, s28, v0
	s_addc_u32 s17, s17, s25
	s_mov_b64 s[30:31], s[34:35]
	s_or_b64 s[8:9], vcc, s[8:9]
	s_waitcnt vmcnt(0) lgkmcnt(0)
	v_fmac_f32_e32 v4, s36, v6
	s_andn2_b64 exec, exec, s[8:9]
	s_cbranch_execnz .LBB0_6
; %bb.7:
	s_or_b64 exec, exec, s[8:9]
.LBB0_8:
	s_or_b64 exec, exec, s[20:21]
	s_branch .LBB0_17
.LBB0_9:
                                        ; implicit-def: $vgpr4
	s_and_b64 vcc, exec, s[20:21]
	s_cbranch_vccz .LBB0_17
; %bb.10:
	s_and_b64 vcc, exec, s[0:1]
	v_add_u32_e32 v2, 1, v0
	s_cbranch_vccnz .LBB0_12
; %bb.11:
	v_mad_i64_i32 v[4:5], s[0:1], v2, v0, 0
	v_lshlrev_b64 v[4:5], 1, v[4:5]
	v_and_b32_e32 v3, -4, v4
	v_mov_b32_e32 v4, s6
	v_add_co_u32_e32 v3, vcc, s2, v3
	v_addc_co_u32_e32 v6, vcc, v4, v5, vcc
	v_lshlrev_b64 v[4:5], 2, v[0:1]
	v_add_co_u32_e32 v4, vcc, v3, v4
	v_addc_co_u32_e32 v5, vcc, v6, v5, vcc
	global_load_dword v3, v[4:5], off
	s_waitcnt vmcnt(0)
	v_mul_f32_e32 v8, v8, v3
.LBB0_12:
	v_cmp_gt_i32_e32 vcc, s3, v2
	s_and_saveexec_b64 s[0:1], vcc
	s_cbranch_execz .LBB0_16
; %bb.13:
	v_lshlrev_b64 v[4:5], 2, v[0:1]
	v_mov_b32_e32 v3, s6
	v_add_co_u32_e32 v9, vcc, s2, v4
	v_addc_co_u32_e32 v10, vcc, v3, v5, vcc
	v_ashrrev_i32_e32 v3, 31, v2
	s_add_u32 s2, s14, s12
	v_mul_lo_u32 v11, s19, v2
	v_mul_lo_u32 v12, s18, v3
	v_mad_u64_u32 v[6:7], s[8:9], s18, v2, 0
	s_addc_u32 s6, s15, s13
	v_add3_u32 v7, v7, v12, v11
	s_add_u32 s2, s2, s10
	v_lshlrev_b64 v[6:7], 2, v[6:7]
	s_addc_u32 s6, s6, s11
	v_add_u32_e32 v4, 2, v0
	v_mov_b32_e32 v11, s6
	v_add_co_u32_e32 v6, vcc, s2, v6
	s_lshl_b64 s[10:11], s[18:19], 2
	v_ashrrev_i32_e32 v5, 31, v4
	v_addc_co_u32_e32 v7, vcc, v11, v7, vcc
	s_mov_b64 s[8:9], 0
	v_mov_b32_e32 v11, s11
.LBB0_14:                               ; =>This Inner Loop Header: Depth=1
	v_mul_lo_u32 v14, v5, v2
	v_mul_lo_u32 v15, v4, v3
	v_mad_u64_u32 v[12:13], s[12:13], v4, v2, 0
	v_add3_u32 v13, v13, v15, v14
	v_lshlrev_b64 v[12:13], 1, v[12:13]
	v_and_b32_e32 v12, -4, v12
	v_add_co_u32_e32 v12, vcc, v9, v12
	v_addc_co_u32_e32 v13, vcc, v10, v13, vcc
	global_load_dword v16, v[6:7], off
	v_add_co_u32_e32 v2, vcc, 1, v2
	global_load_dword v12, v[12:13], off
	v_addc_co_u32_e32 v3, vcc, 0, v3, vcc
	v_add_co_u32_e32 v4, vcc, 1, v4
	v_addc_co_u32_e32 v5, vcc, 0, v5, vcc
	v_add_co_u32_e32 v6, vcc, s10, v6
	v_addc_co_u32_e32 v7, vcc, v7, v11, vcc
	v_cmp_le_i32_e32 vcc, s3, v2
	s_or_b64 s[8:9], vcc, s[8:9]
	s_waitcnt vmcnt(0)
	v_fmac_f32_e32 v8, v12, v16
	s_andn2_b64 exec, exec, s[8:9]
	s_cbranch_execnz .LBB0_14
; %bb.15:
	s_or_b64 exec, exec, s[8:9]
.LBB0_16:
	s_or_b64 exec, exec, s[0:1]
	s_waitcnt vmcnt(0)
	v_mov_b32_e32 v4, v8
.LBB0_17:
	s_load_dwordx2 s[0:1], s[4:5], 0x48
	v_lshlrev_b64 v[0:1], 2, v[0:1]
	s_waitcnt lgkmcnt(0)
	s_mul_i32 s1, s7, s1
	s_mul_hi_u32 s2, s7, s0
	s_mul_i32 s0, s7, s0
	s_add_i32 s1, s2, s1
	s_lshl_b64 s[0:1], s[0:1], 2
	s_add_u32 s0, s22, s0
	s_addc_u32 s1, s23, s1
	v_mov_b32_e32 v2, s1
	v_add_co_u32_e32 v0, vcc, s0, v0
	v_addc_co_u32_e32 v1, vcc, v2, v1, vcc
	global_store_dword v[0:1], v4, off
.LBB0_18:
	s_endpgm
	.section	.rodata,"a",@progbits
	.p2align	6, 0x0
	.amdhsa_kernel _ZL20rocblas_tpmvn_kernelILi512EPKfPfS2_EvbbiT0_llT1_lllT2_li
		.amdhsa_group_segment_fixed_size 0
		.amdhsa_private_segment_fixed_size 0
		.amdhsa_kernarg_size 344
		.amdhsa_user_sgpr_count 6
		.amdhsa_user_sgpr_private_segment_buffer 1
		.amdhsa_user_sgpr_dispatch_ptr 0
		.amdhsa_user_sgpr_queue_ptr 0
		.amdhsa_user_sgpr_kernarg_segment_ptr 1
		.amdhsa_user_sgpr_dispatch_id 0
		.amdhsa_user_sgpr_flat_scratch_init 0
		.amdhsa_user_sgpr_kernarg_preload_length 0
		.amdhsa_user_sgpr_kernarg_preload_offset 0
		.amdhsa_user_sgpr_private_segment_size 0
		.amdhsa_uses_dynamic_stack 0
		.amdhsa_system_sgpr_private_segment_wavefront_offset 0
		.amdhsa_system_sgpr_workgroup_id_x 1
		.amdhsa_system_sgpr_workgroup_id_y 0
		.amdhsa_system_sgpr_workgroup_id_z 1
		.amdhsa_system_sgpr_workgroup_info 0
		.amdhsa_system_vgpr_workitem_id 0
		.amdhsa_next_free_vgpr 17
		.amdhsa_next_free_sgpr 37
		.amdhsa_accum_offset 20
		.amdhsa_reserve_vcc 1
		.amdhsa_reserve_flat_scratch 0
		.amdhsa_float_round_mode_32 0
		.amdhsa_float_round_mode_16_64 0
		.amdhsa_float_denorm_mode_32 3
		.amdhsa_float_denorm_mode_16_64 3
		.amdhsa_dx10_clamp 1
		.amdhsa_ieee_mode 1
		.amdhsa_fp16_overflow 0
		.amdhsa_tg_split 0
		.amdhsa_exception_fp_ieee_invalid_op 0
		.amdhsa_exception_fp_denorm_src 0
		.amdhsa_exception_fp_ieee_div_zero 0
		.amdhsa_exception_fp_ieee_overflow 0
		.amdhsa_exception_fp_ieee_underflow 0
		.amdhsa_exception_fp_ieee_inexact 0
		.amdhsa_exception_int_div_zero 0
	.end_amdhsa_kernel
	.section	.text._ZL20rocblas_tpmvn_kernelILi512EPKfPfS2_EvbbiT0_llT1_lllT2_li,"axG",@progbits,_ZL20rocblas_tpmvn_kernelILi512EPKfPfS2_EvbbiT0_llT1_lllT2_li,comdat
.Lfunc_end0:
	.size	_ZL20rocblas_tpmvn_kernelILi512EPKfPfS2_EvbbiT0_llT1_lllT2_li, .Lfunc_end0-_ZL20rocblas_tpmvn_kernelILi512EPKfPfS2_EvbbiT0_llT1_lllT2_li
                                        ; -- End function
	.section	.AMDGPU.csdata,"",@progbits
; Kernel info:
; codeLenInByte = 992
; NumSgprs: 41
; NumVgprs: 17
; NumAgprs: 0
; TotalNumVgprs: 17
; ScratchSize: 0
; MemoryBound: 0
; FloatMode: 240
; IeeeMode: 1
; LDSByteSize: 0 bytes/workgroup (compile time only)
; SGPRBlocks: 5
; VGPRBlocks: 2
; NumSGPRsForWavesPerEU: 41
; NumVGPRsForWavesPerEU: 17
; AccumOffset: 20
; Occupancy: 8
; WaveLimiterHint : 0
; COMPUTE_PGM_RSRC2:SCRATCH_EN: 0
; COMPUTE_PGM_RSRC2:USER_SGPR: 6
; COMPUTE_PGM_RSRC2:TRAP_HANDLER: 0
; COMPUTE_PGM_RSRC2:TGID_X_EN: 1
; COMPUTE_PGM_RSRC2:TGID_Y_EN: 0
; COMPUTE_PGM_RSRC2:TGID_Z_EN: 1
; COMPUTE_PGM_RSRC2:TIDIG_COMP_CNT: 0
; COMPUTE_PGM_RSRC3_GFX90A:ACCUM_OFFSET: 4
; COMPUTE_PGM_RSRC3_GFX90A:TG_SPLIT: 0
	.section	.text._ZL20rocblas_tpmvt_kernelILi512EPKfPfS2_EvbbiT0_llT1_lllT2_li,"axG",@progbits,_ZL20rocblas_tpmvt_kernelILi512EPKfPfS2_EvbbiT0_llT1_lllT2_li,comdat
	.globl	_ZL20rocblas_tpmvt_kernelILi512EPKfPfS2_EvbbiT0_llT1_lllT2_li ; -- Begin function _ZL20rocblas_tpmvt_kernelILi512EPKfPfS2_EvbbiT0_llT1_lllT2_li
	.p2align	8
	.type	_ZL20rocblas_tpmvt_kernelILi512EPKfPfS2_EvbbiT0_llT1_lllT2_li,@function
_ZL20rocblas_tpmvt_kernelILi512EPKfPfS2_EvbbiT0_llT1_lllT2_li: ; @_ZL20rocblas_tpmvt_kernelILi512EPKfPfS2_EvbbiT0_llT1_lllT2_li
; %bb.0:
	s_load_dword s0, s[4:5], 0x64
	s_load_dwordx2 s[24:25], s[4:5], 0x0
	s_waitcnt lgkmcnt(0)
	s_and_b32 s0, s0, 0xffff
	s_mul_i32 s6, s6, s0
	v_add_u32_e32 v0, s6, v0
	v_cmp_gt_i32_e32 vcc, s25, v0
	s_and_saveexec_b64 s[0:1], vcc
	s_cbranch_execz .LBB1_18
; %bb.1:
	s_load_dword s0, s[4:5], 0x0
	s_load_dwordx16 s[8:23], s[4:5], 0x8
	v_ashrrev_i32_e32 v1, 31, v0
	s_waitcnt lgkmcnt(0)
	s_and_b32 s28, s0, 1
	s_mul_i32 s2, s7, s13
	s_mul_hi_u32 s3, s7, s12
	s_bitcmp1_b32 s24, 8
	s_cselect_b64 s[0:1], -1, 0
	s_add_i32 s3, s3, s2
	s_mul_i32 s2, s7, s12
	s_xor_b64 s[0:1], s[0:1], -1
	s_lshl_b64 s[12:13], s[2:3], 2
	s_add_u32 s2, s8, s12
	s_addc_u32 s3, s9, s13
	s_lshl_b64 s[10:11], s[10:11], 2
	s_add_u32 s6, s2, s10
	s_addc_u32 s24, s3, s11
	s_mul_i32 s2, s7, s21
	s_mul_hi_u32 s3, s7, s20
	s_add_i32 s3, s3, s2
	s_mul_i32 s2, s7, s20
	s_lshl_b64 s[20:21], s[2:3], 2
	s_add_u32 s2, s14, s20
	s_addc_u32 s3, s15, s21
	s_lshl_b64 s[26:27], s[16:17], 2
	v_mul_lo_u32 v4, v0, s19
	v_mul_lo_u32 v5, v1, s18
	v_mad_u64_u32 v[2:3], s[16:17], v0, s18, 0
	s_add_u32 s2, s2, s26
	v_add3_u32 v3, v3, v4, v5
	s_addc_u32 s3, s3, s27
	v_lshlrev_b64 v[2:3], 2, v[2:3]
	v_mov_b32_e32 v4, s3
	v_add_co_u32_e32 v2, vcc, s2, v2
	v_addc_co_u32_e32 v3, vcc, v4, v3, vcc
	global_load_dword v8, v[2:3], off
	v_cndmask_b32_e64 v2, 0, 1, s[0:1]
	s_mov_b64 s[16:17], -1
	s_cmp_eq_u32 s28, 0
	v_cmp_ne_u32_e64 s[0:1], 1, v2
	s_cbranch_scc0 .LBB1_9
; %bb.2:
	s_and_b64 vcc, exec, s[0:1]
	s_waitcnt vmcnt(0)
	v_mov_b32_e32 v9, v8
	s_cbranch_vccnz .LBB1_4
; %bb.3:
	v_add_co_u32_e32 v4, vcc, -1, v0
	v_addc_co_u32_e32 v5, vcc, -1, v1, vcc
	v_mul_lo_u32 v6, v5, v0
	v_mul_lo_u32 v7, v4, v1
	v_mad_u64_u32 v[4:5], s[16:17], v4, v0, 0
	v_add3_u32 v5, v5, v7, v6
	v_mad_i64_i32 v[2:3], s[16:17], v0, s25, 0
	v_lshrrev_b64 v[4:5], 1, v[4:5]
	v_sub_co_u32_e32 v2, vcc, v2, v4
	v_subb_co_u32_e32 v3, vcc, v3, v5, vcc
	v_lshlrev_b64 v[2:3], 2, v[2:3]
	v_mov_b32_e32 v4, s24
	v_add_co_u32_e32 v2, vcc, s6, v2
	v_addc_co_u32_e32 v3, vcc, v4, v3, vcc
	global_load_dword v2, v[2:3], off
	s_waitcnt vmcnt(0)
	v_mul_f32_e32 v9, v8, v2
.LBB1_4:
	v_add_u32_e32 v2, 1, v0
	v_cmp_gt_i32_e32 vcc, s25, v2
	s_and_saveexec_b64 s[16:17], vcc
	s_cbranch_execz .LBB1_8
; %bb.5:
	v_add_co_u32_e32 v3, vcc, -1, v0
	s_ashr_i32 s29, s25, 31
	v_addc_co_u32_e32 v4, vcc, -1, v1, vcc
	v_mul_lo_u32 v4, v4, v0
	v_mul_lo_u32 v5, v3, v1
	v_mad_u64_u32 v[6:7], s[30:31], v3, v0, 0
	v_ashrrev_i32_e32 v3, 31, v2
	s_add_u32 s14, s14, s26
	v_add3_u32 v7, v7, v5, v4
	v_mul_lo_u32 v10, s19, v2
	v_mul_lo_u32 v11, s18, v3
	v_mad_u64_u32 v[4:5], s[30:31], s18, v2, 0
	s_addc_u32 s15, s15, s27
	v_add3_u32 v5, v5, v11, v10
	s_add_u32 s14, s14, s20
	s_mov_b32 s28, s25
	v_lshlrev_b64 v[4:5], 2, v[4:5]
	s_addc_u32 s15, s15, s21
	v_mov_b32_e32 v10, s15
	v_add_co_u32_e32 v4, vcc, s14, v4
	s_lshl_b64 s[14:15], s[18:19], 2
	s_lshl_b64 s[20:21], s[28:29], 2
	s_add_u32 s20, s20, -4
	s_addc_u32 s21, s21, -1
	s_add_u32 s10, s10, s12
	s_addc_u32 s11, s11, s13
	v_addc_co_u32_e32 v5, vcc, v10, v5, vcc
	v_pk_mov_b32 v[10:11], s[10:11], s[10:11] op_sel:[0,1]
	v_mad_u64_u32 v[10:11], s[10:11], s20, v0, v[10:11]
	v_mul_lo_u32 v12, s20, v1
	v_mul_lo_u32 v13, s21, v0
	v_add3_u32 v11, v13, v11, v12
	v_lshlrev_b64 v[12:13], 2, v[2:3]
	v_add_co_u32_e32 v3, vcc, v10, v12
	v_lshlrev_b64 v[6:7], 1, v[6:7]
	v_addc_co_u32_e32 v10, vcc, v11, v13, vcc
	v_and_b32_e32 v6, -4, v6
	v_sub_co_u32_e32 v3, vcc, v3, v6
	v_subb_co_u32_e32 v7, vcc, v10, v7, vcc
	v_mov_b32_e32 v10, s9
	v_add_co_u32_e32 v6, vcc, s8, v3
	v_addc_co_u32_e32 v7, vcc, v10, v7, vcc
	s_mov_b64 s[8:9], 0
	v_mov_b32_e32 v3, s15
.LBB1_6:                                ; =>This Inner Loop Header: Depth=1
	global_load_dword v10, v[6:7], off
	global_load_dword v11, v[4:5], off
	v_add_co_u32_e32 v4, vcc, s14, v4
	v_addc_co_u32_e32 v5, vcc, v5, v3, vcc
	v_add_co_u32_e32 v6, vcc, 4, v6
	v_add_u32_e32 v2, 1, v2
	v_addc_co_u32_e32 v7, vcc, 0, v7, vcc
	v_cmp_le_i32_e32 vcc, s25, v2
	s_or_b64 s[8:9], vcc, s[8:9]
	s_waitcnt vmcnt(0)
	v_fmac_f32_e32 v9, v10, v11
	s_andn2_b64 exec, exec, s[8:9]
	s_cbranch_execnz .LBB1_6
; %bb.7:
	s_or_b64 exec, exec, s[8:9]
.LBB1_8:
	s_or_b64 exec, exec, s[16:17]
	s_branch .LBB1_17
.LBB1_9:
                                        ; implicit-def: $vgpr9
	s_and_b64 vcc, exec, s[16:17]
	s_cbranch_vccz .LBB1_17
; %bb.10:
	s_and_b64 vcc, exec, s[0:1]
	v_add_u32_e32 v2, 1, v0
	s_cbranch_vccnz .LBB1_12
; %bb.11:
	v_mad_i64_i32 v[4:5], s[0:1], v2, v0, 0
	v_lshlrev_b64 v[4:5], 1, v[4:5]
	v_and_b32_e32 v3, -4, v4
	v_mov_b32_e32 v4, s24
	v_add_co_u32_e32 v3, vcc, s6, v3
	v_addc_co_u32_e32 v6, vcc, v4, v5, vcc
	v_lshlrev_b64 v[4:5], 2, v[0:1]
	v_add_co_u32_e32 v4, vcc, v3, v4
	v_addc_co_u32_e32 v5, vcc, v6, v5, vcc
	global_load_dword v3, v[4:5], off
	s_waitcnt vmcnt(0)
	v_mul_f32_e32 v8, v8, v3
.LBB1_12:
	v_cmp_lt_i32_e32 vcc, 0, v0
	s_and_saveexec_b64 s[0:1], vcc
	s_cbranch_execz .LBB1_16
; %bb.13:
	v_mad_u64_u32 v[4:5], s[8:9], v2, v0, 0
	v_mov_b32_e32 v6, v5
	v_mad_u64_u32 v[2:3], s[8:9], v2, v1, v[6:7]
	v_mov_b32_e32 v5, v2
	v_lshlrev_b64 v[2:3], 1, v[4:5]
	v_and_b32_e32 v2, -4, v2
	v_mov_b32_e32 v4, s24
	v_add_co_u32_e32 v2, vcc, s6, v2
	v_addc_co_u32_e32 v3, vcc, v4, v3, vcc
	s_lshl_b64 s[10:11], s[18:19], 2
	s_mov_b64 s[8:9], 0
	v_mov_b32_e32 v4, v0
.LBB1_14:                               ; =>This Inner Loop Header: Depth=1
	global_load_dword v5, v[2:3], off
	s_load_dword s6, s[2:3], 0x0
	v_add_co_u32_e32 v2, vcc, 4, v2
	v_add_u32_e32 v4, -1, v4
	v_addc_co_u32_e32 v3, vcc, 0, v3, vcc
	s_add_u32 s2, s2, s10
	s_addc_u32 s3, s3, s11
	v_cmp_eq_u32_e32 vcc, 0, v4
	s_or_b64 s[8:9], vcc, s[8:9]
	s_waitcnt vmcnt(0) lgkmcnt(0)
	v_fmac_f32_e32 v8, s6, v5
	s_andn2_b64 exec, exec, s[8:9]
	s_cbranch_execnz .LBB1_14
; %bb.15:
	s_or_b64 exec, exec, s[8:9]
.LBB1_16:
	s_or_b64 exec, exec, s[0:1]
	s_waitcnt vmcnt(0)
	v_mov_b32_e32 v9, v8
.LBB1_17:
	s_load_dwordx2 s[0:1], s[4:5], 0x48
	v_lshlrev_b64 v[0:1], 2, v[0:1]
	s_waitcnt lgkmcnt(0)
	s_mul_i32 s1, s7, s1
	s_mul_hi_u32 s2, s7, s0
	s_mul_i32 s0, s7, s0
	s_add_i32 s1, s2, s1
	s_lshl_b64 s[0:1], s[0:1], 2
	s_add_u32 s0, s22, s0
	s_addc_u32 s1, s23, s1
	v_mov_b32_e32 v2, s1
	v_add_co_u32_e32 v0, vcc, s0, v0
	v_addc_co_u32_e32 v1, vcc, v2, v1, vcc
	global_store_dword v[0:1], v9, off
.LBB1_18:
	s_endpgm
	.section	.rodata,"a",@progbits
	.p2align	6, 0x0
	.amdhsa_kernel _ZL20rocblas_tpmvt_kernelILi512EPKfPfS2_EvbbiT0_llT1_lllT2_li
		.amdhsa_group_segment_fixed_size 0
		.amdhsa_private_segment_fixed_size 0
		.amdhsa_kernarg_size 344
		.amdhsa_user_sgpr_count 6
		.amdhsa_user_sgpr_private_segment_buffer 1
		.amdhsa_user_sgpr_dispatch_ptr 0
		.amdhsa_user_sgpr_queue_ptr 0
		.amdhsa_user_sgpr_kernarg_segment_ptr 1
		.amdhsa_user_sgpr_dispatch_id 0
		.amdhsa_user_sgpr_flat_scratch_init 0
		.amdhsa_user_sgpr_kernarg_preload_length 0
		.amdhsa_user_sgpr_kernarg_preload_offset 0
		.amdhsa_user_sgpr_private_segment_size 0
		.amdhsa_uses_dynamic_stack 0
		.amdhsa_system_sgpr_private_segment_wavefront_offset 0
		.amdhsa_system_sgpr_workgroup_id_x 1
		.amdhsa_system_sgpr_workgroup_id_y 0
		.amdhsa_system_sgpr_workgroup_id_z 1
		.amdhsa_system_sgpr_workgroup_info 0
		.amdhsa_system_vgpr_workitem_id 0
		.amdhsa_next_free_vgpr 14
		.amdhsa_next_free_sgpr 32
		.amdhsa_accum_offset 16
		.amdhsa_reserve_vcc 1
		.amdhsa_reserve_flat_scratch 0
		.amdhsa_float_round_mode_32 0
		.amdhsa_float_round_mode_16_64 0
		.amdhsa_float_denorm_mode_32 3
		.amdhsa_float_denorm_mode_16_64 3
		.amdhsa_dx10_clamp 1
		.amdhsa_ieee_mode 1
		.amdhsa_fp16_overflow 0
		.amdhsa_tg_split 0
		.amdhsa_exception_fp_ieee_invalid_op 0
		.amdhsa_exception_fp_denorm_src 0
		.amdhsa_exception_fp_ieee_div_zero 0
		.amdhsa_exception_fp_ieee_overflow 0
		.amdhsa_exception_fp_ieee_underflow 0
		.amdhsa_exception_fp_ieee_inexact 0
		.amdhsa_exception_int_div_zero 0
	.end_amdhsa_kernel
	.section	.text._ZL20rocblas_tpmvt_kernelILi512EPKfPfS2_EvbbiT0_llT1_lllT2_li,"axG",@progbits,_ZL20rocblas_tpmvt_kernelILi512EPKfPfS2_EvbbiT0_llT1_lllT2_li,comdat
.Lfunc_end1:
	.size	_ZL20rocblas_tpmvt_kernelILi512EPKfPfS2_EvbbiT0_llT1_lllT2_li, .Lfunc_end1-_ZL20rocblas_tpmvt_kernelILi512EPKfPfS2_EvbbiT0_llT1_lllT2_li
                                        ; -- End function
	.section	.AMDGPU.csdata,"",@progbits
; Kernel info:
; codeLenInByte = 1004
; NumSgprs: 36
; NumVgprs: 14
; NumAgprs: 0
; TotalNumVgprs: 14
; ScratchSize: 0
; MemoryBound: 0
; FloatMode: 240
; IeeeMode: 1
; LDSByteSize: 0 bytes/workgroup (compile time only)
; SGPRBlocks: 4
; VGPRBlocks: 1
; NumSGPRsForWavesPerEU: 36
; NumVGPRsForWavesPerEU: 14
; AccumOffset: 16
; Occupancy: 8
; WaveLimiterHint : 0
; COMPUTE_PGM_RSRC2:SCRATCH_EN: 0
; COMPUTE_PGM_RSRC2:USER_SGPR: 6
; COMPUTE_PGM_RSRC2:TRAP_HANDLER: 0
; COMPUTE_PGM_RSRC2:TGID_X_EN: 1
; COMPUTE_PGM_RSRC2:TGID_Y_EN: 0
; COMPUTE_PGM_RSRC2:TGID_Z_EN: 1
; COMPUTE_PGM_RSRC2:TIDIG_COMP_CNT: 0
; COMPUTE_PGM_RSRC3_GFX90A:ACCUM_OFFSET: 3
; COMPUTE_PGM_RSRC3_GFX90A:TG_SPLIT: 0
	.section	.text._ZL20rocblas_tpmvc_kernelILi512EPKfPfS2_EvbbiT0_llT1_lllT2_li,"axG",@progbits,_ZL20rocblas_tpmvc_kernelILi512EPKfPfS2_EvbbiT0_llT1_lllT2_li,comdat
	.globl	_ZL20rocblas_tpmvc_kernelILi512EPKfPfS2_EvbbiT0_llT1_lllT2_li ; -- Begin function _ZL20rocblas_tpmvc_kernelILi512EPKfPfS2_EvbbiT0_llT1_lllT2_li
	.p2align	8
	.type	_ZL20rocblas_tpmvc_kernelILi512EPKfPfS2_EvbbiT0_llT1_lllT2_li,@function
_ZL20rocblas_tpmvc_kernelILi512EPKfPfS2_EvbbiT0_llT1_lllT2_li: ; @_ZL20rocblas_tpmvc_kernelILi512EPKfPfS2_EvbbiT0_llT1_lllT2_li
; %bb.0:
	s_load_dword s0, s[4:5], 0x64
	s_load_dwordx2 s[24:25], s[4:5], 0x0
	s_waitcnt lgkmcnt(0)
	s_and_b32 s0, s0, 0xffff
	s_mul_i32 s6, s6, s0
	v_add_u32_e32 v0, s6, v0
	v_cmp_gt_i32_e32 vcc, s25, v0
	s_and_saveexec_b64 s[0:1], vcc
	s_cbranch_execz .LBB2_18
; %bb.1:
	s_load_dword s0, s[4:5], 0x0
	s_load_dwordx16 s[8:23], s[4:5], 0x8
	v_ashrrev_i32_e32 v1, 31, v0
	s_waitcnt lgkmcnt(0)
	s_and_b32 s28, s0, 1
	s_mul_i32 s2, s7, s13
	s_mul_hi_u32 s3, s7, s12
	s_bitcmp1_b32 s24, 8
	s_cselect_b64 s[0:1], -1, 0
	s_add_i32 s3, s3, s2
	s_mul_i32 s2, s7, s12
	s_xor_b64 s[0:1], s[0:1], -1
	s_lshl_b64 s[12:13], s[2:3], 2
	s_add_u32 s2, s8, s12
	s_addc_u32 s3, s9, s13
	s_lshl_b64 s[10:11], s[10:11], 2
	s_add_u32 s6, s2, s10
	s_addc_u32 s24, s3, s11
	s_mul_i32 s2, s7, s21
	s_mul_hi_u32 s3, s7, s20
	s_add_i32 s3, s3, s2
	s_mul_i32 s2, s7, s20
	s_lshl_b64 s[20:21], s[2:3], 2
	s_add_u32 s2, s14, s20
	s_addc_u32 s3, s15, s21
	s_lshl_b64 s[26:27], s[16:17], 2
	v_mul_lo_u32 v4, v0, s19
	v_mul_lo_u32 v5, v1, s18
	v_mad_u64_u32 v[2:3], s[16:17], v0, s18, 0
	s_add_u32 s2, s2, s26
	v_add3_u32 v3, v3, v4, v5
	s_addc_u32 s3, s3, s27
	v_lshlrev_b64 v[2:3], 2, v[2:3]
	v_mov_b32_e32 v4, s3
	v_add_co_u32_e32 v2, vcc, s2, v2
	v_addc_co_u32_e32 v3, vcc, v4, v3, vcc
	global_load_dword v8, v[2:3], off
	v_cndmask_b32_e64 v2, 0, 1, s[0:1]
	s_mov_b64 s[16:17], -1
	s_cmp_eq_u32 s28, 0
	v_cmp_ne_u32_e64 s[0:1], 1, v2
	s_cbranch_scc0 .LBB2_9
; %bb.2:
	s_and_b64 vcc, exec, s[0:1]
	s_waitcnt vmcnt(0)
	v_mov_b32_e32 v9, v8
	s_cbranch_vccnz .LBB2_4
; %bb.3:
	v_add_co_u32_e32 v4, vcc, -1, v0
	v_addc_co_u32_e32 v5, vcc, -1, v1, vcc
	v_mul_lo_u32 v6, v5, v0
	v_mul_lo_u32 v7, v4, v1
	v_mad_u64_u32 v[4:5], s[16:17], v4, v0, 0
	v_add3_u32 v5, v5, v7, v6
	v_mad_i64_i32 v[2:3], s[16:17], v0, s25, 0
	v_lshrrev_b64 v[4:5], 1, v[4:5]
	v_sub_co_u32_e32 v2, vcc, v2, v4
	v_subb_co_u32_e32 v3, vcc, v3, v5, vcc
	v_lshlrev_b64 v[2:3], 2, v[2:3]
	v_mov_b32_e32 v4, s24
	v_add_co_u32_e32 v2, vcc, s6, v2
	v_addc_co_u32_e32 v3, vcc, v4, v3, vcc
	global_load_dword v2, v[2:3], off
	s_waitcnt vmcnt(0)
	v_mul_f32_e32 v9, v8, v2
.LBB2_4:
	v_add_u32_e32 v2, 1, v0
	v_cmp_gt_i32_e32 vcc, s25, v2
	s_and_saveexec_b64 s[16:17], vcc
	s_cbranch_execz .LBB2_8
; %bb.5:
	v_add_co_u32_e32 v3, vcc, -1, v0
	s_ashr_i32 s29, s25, 31
	v_addc_co_u32_e32 v4, vcc, -1, v1, vcc
	v_mul_lo_u32 v4, v4, v0
	v_mul_lo_u32 v5, v3, v1
	v_mad_u64_u32 v[6:7], s[30:31], v3, v0, 0
	v_ashrrev_i32_e32 v3, 31, v2
	s_add_u32 s14, s14, s26
	v_add3_u32 v7, v7, v5, v4
	v_mul_lo_u32 v10, s19, v2
	v_mul_lo_u32 v11, s18, v3
	v_mad_u64_u32 v[4:5], s[30:31], s18, v2, 0
	s_addc_u32 s15, s15, s27
	v_add3_u32 v5, v5, v11, v10
	s_add_u32 s14, s14, s20
	s_mov_b32 s28, s25
	v_lshlrev_b64 v[4:5], 2, v[4:5]
	s_addc_u32 s15, s15, s21
	v_mov_b32_e32 v10, s15
	v_add_co_u32_e32 v4, vcc, s14, v4
	s_lshl_b64 s[14:15], s[18:19], 2
	s_lshl_b64 s[20:21], s[28:29], 2
	s_add_u32 s20, s20, -4
	s_addc_u32 s21, s21, -1
	s_add_u32 s10, s10, s12
	s_addc_u32 s11, s11, s13
	v_addc_co_u32_e32 v5, vcc, v10, v5, vcc
	v_pk_mov_b32 v[10:11], s[10:11], s[10:11] op_sel:[0,1]
	v_mad_u64_u32 v[10:11], s[10:11], s20, v0, v[10:11]
	v_mul_lo_u32 v12, s20, v1
	v_mul_lo_u32 v13, s21, v0
	v_add3_u32 v11, v13, v11, v12
	v_lshlrev_b64 v[12:13], 2, v[2:3]
	v_add_co_u32_e32 v3, vcc, v10, v12
	v_lshlrev_b64 v[6:7], 1, v[6:7]
	v_addc_co_u32_e32 v10, vcc, v11, v13, vcc
	v_and_b32_e32 v6, -4, v6
	v_sub_co_u32_e32 v3, vcc, v3, v6
	v_subb_co_u32_e32 v7, vcc, v10, v7, vcc
	v_mov_b32_e32 v10, s9
	v_add_co_u32_e32 v6, vcc, s8, v3
	v_addc_co_u32_e32 v7, vcc, v10, v7, vcc
	s_mov_b64 s[8:9], 0
	v_mov_b32_e32 v3, s15
.LBB2_6:                                ; =>This Inner Loop Header: Depth=1
	global_load_dword v10, v[6:7], off
	global_load_dword v11, v[4:5], off
	v_add_co_u32_e32 v4, vcc, s14, v4
	v_addc_co_u32_e32 v5, vcc, v5, v3, vcc
	v_add_co_u32_e32 v6, vcc, 4, v6
	v_add_u32_e32 v2, 1, v2
	v_addc_co_u32_e32 v7, vcc, 0, v7, vcc
	v_cmp_le_i32_e32 vcc, s25, v2
	s_or_b64 s[8:9], vcc, s[8:9]
	s_waitcnt vmcnt(0)
	v_fmac_f32_e32 v9, v10, v11
	s_andn2_b64 exec, exec, s[8:9]
	s_cbranch_execnz .LBB2_6
; %bb.7:
	s_or_b64 exec, exec, s[8:9]
.LBB2_8:
	s_or_b64 exec, exec, s[16:17]
	s_branch .LBB2_17
.LBB2_9:
                                        ; implicit-def: $vgpr9
	s_and_b64 vcc, exec, s[16:17]
	s_cbranch_vccz .LBB2_17
; %bb.10:
	s_and_b64 vcc, exec, s[0:1]
	v_add_u32_e32 v2, 1, v0
	s_cbranch_vccnz .LBB2_12
; %bb.11:
	v_mad_i64_i32 v[4:5], s[0:1], v2, v0, 0
	v_lshlrev_b64 v[4:5], 1, v[4:5]
	v_and_b32_e32 v3, -4, v4
	v_mov_b32_e32 v4, s24
	v_add_co_u32_e32 v3, vcc, s6, v3
	v_addc_co_u32_e32 v6, vcc, v4, v5, vcc
	v_lshlrev_b64 v[4:5], 2, v[0:1]
	v_add_co_u32_e32 v4, vcc, v3, v4
	v_addc_co_u32_e32 v5, vcc, v6, v5, vcc
	global_load_dword v3, v[4:5], off
	s_waitcnt vmcnt(0)
	v_mul_f32_e32 v8, v8, v3
.LBB2_12:
	v_cmp_lt_i32_e32 vcc, 0, v0
	s_and_saveexec_b64 s[0:1], vcc
	s_cbranch_execz .LBB2_16
; %bb.13:
	v_mad_u64_u32 v[4:5], s[8:9], v2, v0, 0
	v_mov_b32_e32 v6, v5
	v_mad_u64_u32 v[2:3], s[8:9], v2, v1, v[6:7]
	v_mov_b32_e32 v5, v2
	v_lshlrev_b64 v[2:3], 1, v[4:5]
	v_and_b32_e32 v2, -4, v2
	v_mov_b32_e32 v4, s24
	v_add_co_u32_e32 v2, vcc, s6, v2
	v_addc_co_u32_e32 v3, vcc, v4, v3, vcc
	s_lshl_b64 s[10:11], s[18:19], 2
	s_mov_b64 s[8:9], 0
	v_mov_b32_e32 v4, v0
.LBB2_14:                               ; =>This Inner Loop Header: Depth=1
	global_load_dword v5, v[2:3], off
	s_load_dword s6, s[2:3], 0x0
	v_add_co_u32_e32 v2, vcc, 4, v2
	v_add_u32_e32 v4, -1, v4
	v_addc_co_u32_e32 v3, vcc, 0, v3, vcc
	s_add_u32 s2, s2, s10
	s_addc_u32 s3, s3, s11
	v_cmp_eq_u32_e32 vcc, 0, v4
	s_or_b64 s[8:9], vcc, s[8:9]
	s_waitcnt vmcnt(0) lgkmcnt(0)
	v_fmac_f32_e32 v8, s6, v5
	s_andn2_b64 exec, exec, s[8:9]
	s_cbranch_execnz .LBB2_14
; %bb.15:
	s_or_b64 exec, exec, s[8:9]
.LBB2_16:
	s_or_b64 exec, exec, s[0:1]
	s_waitcnt vmcnt(0)
	v_mov_b32_e32 v9, v8
.LBB2_17:
	s_load_dwordx2 s[0:1], s[4:5], 0x48
	v_lshlrev_b64 v[0:1], 2, v[0:1]
	s_waitcnt lgkmcnt(0)
	s_mul_i32 s1, s7, s1
	s_mul_hi_u32 s2, s7, s0
	s_mul_i32 s0, s7, s0
	s_add_i32 s1, s2, s1
	s_lshl_b64 s[0:1], s[0:1], 2
	s_add_u32 s0, s22, s0
	s_addc_u32 s1, s23, s1
	v_mov_b32_e32 v2, s1
	v_add_co_u32_e32 v0, vcc, s0, v0
	v_addc_co_u32_e32 v1, vcc, v2, v1, vcc
	global_store_dword v[0:1], v9, off
.LBB2_18:
	s_endpgm
	.section	.rodata,"a",@progbits
	.p2align	6, 0x0
	.amdhsa_kernel _ZL20rocblas_tpmvc_kernelILi512EPKfPfS2_EvbbiT0_llT1_lllT2_li
		.amdhsa_group_segment_fixed_size 0
		.amdhsa_private_segment_fixed_size 0
		.amdhsa_kernarg_size 344
		.amdhsa_user_sgpr_count 6
		.amdhsa_user_sgpr_private_segment_buffer 1
		.amdhsa_user_sgpr_dispatch_ptr 0
		.amdhsa_user_sgpr_queue_ptr 0
		.amdhsa_user_sgpr_kernarg_segment_ptr 1
		.amdhsa_user_sgpr_dispatch_id 0
		.amdhsa_user_sgpr_flat_scratch_init 0
		.amdhsa_user_sgpr_kernarg_preload_length 0
		.amdhsa_user_sgpr_kernarg_preload_offset 0
		.amdhsa_user_sgpr_private_segment_size 0
		.amdhsa_uses_dynamic_stack 0
		.amdhsa_system_sgpr_private_segment_wavefront_offset 0
		.amdhsa_system_sgpr_workgroup_id_x 1
		.amdhsa_system_sgpr_workgroup_id_y 0
		.amdhsa_system_sgpr_workgroup_id_z 1
		.amdhsa_system_sgpr_workgroup_info 0
		.amdhsa_system_vgpr_workitem_id 0
		.amdhsa_next_free_vgpr 14
		.amdhsa_next_free_sgpr 32
		.amdhsa_accum_offset 16
		.amdhsa_reserve_vcc 1
		.amdhsa_reserve_flat_scratch 0
		.amdhsa_float_round_mode_32 0
		.amdhsa_float_round_mode_16_64 0
		.amdhsa_float_denorm_mode_32 3
		.amdhsa_float_denorm_mode_16_64 3
		.amdhsa_dx10_clamp 1
		.amdhsa_ieee_mode 1
		.amdhsa_fp16_overflow 0
		.amdhsa_tg_split 0
		.amdhsa_exception_fp_ieee_invalid_op 0
		.amdhsa_exception_fp_denorm_src 0
		.amdhsa_exception_fp_ieee_div_zero 0
		.amdhsa_exception_fp_ieee_overflow 0
		.amdhsa_exception_fp_ieee_underflow 0
		.amdhsa_exception_fp_ieee_inexact 0
		.amdhsa_exception_int_div_zero 0
	.end_amdhsa_kernel
	.section	.text._ZL20rocblas_tpmvc_kernelILi512EPKfPfS2_EvbbiT0_llT1_lllT2_li,"axG",@progbits,_ZL20rocblas_tpmvc_kernelILi512EPKfPfS2_EvbbiT0_llT1_lllT2_li,comdat
.Lfunc_end2:
	.size	_ZL20rocblas_tpmvc_kernelILi512EPKfPfS2_EvbbiT0_llT1_lllT2_li, .Lfunc_end2-_ZL20rocblas_tpmvc_kernelILi512EPKfPfS2_EvbbiT0_llT1_lllT2_li
                                        ; -- End function
	.section	.AMDGPU.csdata,"",@progbits
; Kernel info:
; codeLenInByte = 1004
; NumSgprs: 36
; NumVgprs: 14
; NumAgprs: 0
; TotalNumVgprs: 14
; ScratchSize: 0
; MemoryBound: 0
; FloatMode: 240
; IeeeMode: 1
; LDSByteSize: 0 bytes/workgroup (compile time only)
; SGPRBlocks: 4
; VGPRBlocks: 1
; NumSGPRsForWavesPerEU: 36
; NumVGPRsForWavesPerEU: 14
; AccumOffset: 16
; Occupancy: 8
; WaveLimiterHint : 0
; COMPUTE_PGM_RSRC2:SCRATCH_EN: 0
; COMPUTE_PGM_RSRC2:USER_SGPR: 6
; COMPUTE_PGM_RSRC2:TRAP_HANDLER: 0
; COMPUTE_PGM_RSRC2:TGID_X_EN: 1
; COMPUTE_PGM_RSRC2:TGID_Y_EN: 0
; COMPUTE_PGM_RSRC2:TGID_Z_EN: 1
; COMPUTE_PGM_RSRC2:TIDIG_COMP_CNT: 0
; COMPUTE_PGM_RSRC3_GFX90A:ACCUM_OFFSET: 3
; COMPUTE_PGM_RSRC3_GFX90A:TG_SPLIT: 0
	.section	.text._ZL20rocblas_tpmvn_kernelILi512EPKdPdS2_EvbbiT0_llT1_lllT2_li,"axG",@progbits,_ZL20rocblas_tpmvn_kernelILi512EPKdPdS2_EvbbiT0_llT1_lllT2_li,comdat
	.globl	_ZL20rocblas_tpmvn_kernelILi512EPKdPdS2_EvbbiT0_llT1_lllT2_li ; -- Begin function _ZL20rocblas_tpmvn_kernelILi512EPKdPdS2_EvbbiT0_llT1_lllT2_li
	.p2align	8
	.type	_ZL20rocblas_tpmvn_kernelILi512EPKdPdS2_EvbbiT0_llT1_lllT2_li,@function
_ZL20rocblas_tpmvn_kernelILi512EPKdPdS2_EvbbiT0_llT1_lllT2_li: ; @_ZL20rocblas_tpmvn_kernelILi512EPKdPdS2_EvbbiT0_llT1_lllT2_li
; %bb.0:
	s_load_dword s0, s[4:5], 0x64
	s_load_dwordx2 s[2:3], s[4:5], 0x0
	s_waitcnt lgkmcnt(0)
	s_and_b32 s0, s0, 0xffff
	s_mul_i32 s6, s6, s0
	v_add_u32_e32 v0, s6, v0
	v_cmp_gt_i32_e32 vcc, s3, v0
	s_and_saveexec_b64 s[0:1], vcc
	s_cbranch_execz .LBB3_18
; %bb.1:
	s_load_dword s0, s[4:5], 0x0
	s_load_dwordx16 s[8:23], s[4:5], 0x8
	v_ashrrev_i32_e32 v1, 31, v0
	s_waitcnt lgkmcnt(0)
	s_and_b32 s28, s0, 1
	s_mul_i32 s6, s7, s13
	s_mul_hi_u32 s13, s7, s12
	s_bitcmp1_b32 s2, 8
	s_cselect_b64 s[0:1], -1, 0
	s_add_i32 s13, s13, s6
	s_mul_i32 s12, s7, s12
	s_xor_b64 s[0:1], s[0:1], -1
	s_lshl_b64 s[24:25], s[12:13], 3
	s_add_u32 s2, s8, s24
	s_addc_u32 s6, s9, s25
	s_lshl_b64 s[26:27], s[10:11], 3
	s_add_u32 s2, s2, s26
	s_mul_i32 s10, s7, s21
	s_mul_hi_u32 s11, s7, s20
	s_addc_u32 s6, s6, s27
	s_add_i32 s11, s11, s10
	s_mul_i32 s10, s7, s20
	s_lshl_b64 s[10:11], s[10:11], 3
	s_add_u32 s20, s14, s10
	s_addc_u32 s21, s15, s11
	s_lshl_b64 s[12:13], s[16:17], 3
	s_add_u32 s16, s20, s12
	s_addc_u32 s17, s21, s13
	v_mul_lo_u32 v4, v0, s19
	v_mul_lo_u32 v5, v1, s18
	v_mad_u64_u32 v[2:3], s[20:21], v0, s18, 0
	v_add3_u32 v3, v3, v4, v5
	v_lshlrev_b64 v[2:3], 3, v[2:3]
	v_mov_b32_e32 v4, s17
	v_add_co_u32_e32 v2, vcc, s16, v2
	v_addc_co_u32_e32 v3, vcc, v4, v3, vcc
	global_load_dwordx2 v[2:3], v[2:3], off
	v_cndmask_b32_e64 v4, 0, 1, s[0:1]
	s_mov_b64 s[20:21], -1
	s_cmp_eq_u32 s28, 0
	v_cmp_ne_u32_e64 s[0:1], 1, v4
	s_cbranch_scc0 .LBB3_9
; %bb.2:
	s_and_b64 vcc, exec, s[0:1]
	s_waitcnt vmcnt(0)
	v_pk_mov_b32 v[4:5], v[2:3], v[2:3] op_sel:[0,1]
	s_cbranch_vccnz .LBB3_4
; %bb.3:
	v_add_co_u32_e32 v6, vcc, -1, v0
	v_addc_co_u32_e32 v7, vcc, -1, v1, vcc
	v_mul_lo_u32 v8, v7, v0
	v_mul_lo_u32 v9, v6, v1
	v_mad_u64_u32 v[6:7], s[20:21], v6, v0, 0
	v_add3_u32 v7, v7, v9, v8
	v_mad_i64_i32 v[4:5], s[20:21], v0, s3, 0
	v_lshrrev_b64 v[6:7], 1, v[6:7]
	v_sub_co_u32_e32 v4, vcc, v4, v6
	v_subb_co_u32_e32 v5, vcc, v5, v7, vcc
	v_lshlrev_b64 v[4:5], 3, v[4:5]
	v_mov_b32_e32 v6, s6
	v_add_co_u32_e32 v4, vcc, s2, v4
	v_addc_co_u32_e32 v5, vcc, v6, v5, vcc
	global_load_dwordx2 v[4:5], v[4:5], off
	s_waitcnt vmcnt(0)
	v_mul_f64 v[4:5], v[2:3], v[4:5]
.LBB3_4:
	v_cmp_lt_i32_e32 vcc, 0, v0
	s_and_saveexec_b64 s[20:21], vcc
	s_cbranch_execz .LBB3_8
; %bb.5:
	s_ashr_i32 s29, s3, 31
	s_add_u32 s24, s24, s26
	s_addc_u32 s25, s25, s27
	s_add_u32 s8, s8, s24
	s_mov_b32 s28, s3
	v_lshlrev_b64 v[6:7], 3, v[0:1]
	s_addc_u32 s9, s9, s25
	v_mov_b32_e32 v8, s9
	v_add_co_u32_e32 v6, vcc, s8, v6
	s_lshl_b64 s[8:9], s[28:29], 3
	s_add_u32 s33, s8, -8
	s_addc_u32 s26, s9, -1
	v_addc_co_u32_e32 v7, vcc, v8, v7, vcc
	s_lshl_b64 s[24:25], s[18:19], 3
	s_mov_b64 s[8:9], 0
	v_mov_b32_e32 v8, s26
	s_mov_b64 s[26:27], 0
	s_mov_b64 s[30:31], 0
	;; [unrolled: 1-line block ×3, first 2 shown]
.LBB3_6:                                ; =>This Inner Loop Header: Depth=1
	s_lshl_b64 s[34:35], s[26:27], 2
	s_and_b32 s34, s34, -8
	v_mov_b32_e32 v9, s35
	v_subrev_co_u32_e32 v10, vcc, s34, v6
	v_subb_co_u32_e32 v11, vcc, v7, v9, vcc
	global_load_dwordx2 v[10:11], v[10:11], off
	s_add_u32 s28, s28, 1
	s_addc_u32 s29, s29, 0
	s_add_u32 s36, s30, 2
	s_load_dwordx2 s[34:35], s[16:17], 0x0
	s_addc_u32 s37, s31, 0
	s_add_u32 s26, s26, s30
	v_add_co_u32_e32 v6, vcc, s33, v6
	s_addc_u32 s27, s27, s31
	v_addc_co_u32_e32 v7, vcc, v7, v8, vcc
	s_add_u32 s16, s16, s24
	v_cmp_eq_u32_e32 vcc, s28, v0
	s_addc_u32 s17, s17, s25
	s_mov_b64 s[30:31], s[36:37]
	s_or_b64 s[8:9], vcc, s[8:9]
	s_waitcnt vmcnt(0) lgkmcnt(0)
	v_fmac_f64_e32 v[4:5], s[34:35], v[10:11]
	s_andn2_b64 exec, exec, s[8:9]
	s_cbranch_execnz .LBB3_6
; %bb.7:
	s_or_b64 exec, exec, s[8:9]
.LBB3_8:
	s_or_b64 exec, exec, s[20:21]
	s_branch .LBB3_17
.LBB3_9:
                                        ; implicit-def: $vgpr4_vgpr5
	s_and_b64 vcc, exec, s[20:21]
	s_cbranch_vccz .LBB3_17
; %bb.10:
	s_and_b64 vcc, exec, s[0:1]
	v_add_u32_e32 v4, 1, v0
	s_cbranch_vccnz .LBB3_12
; %bb.11:
	v_mad_i64_i32 v[6:7], s[0:1], v4, v0, 0
	v_lshlrev_b64 v[6:7], 2, v[6:7]
	v_and_b32_e32 v5, -8, v6
	v_mov_b32_e32 v6, s6
	v_add_co_u32_e32 v5, vcc, s2, v5
	v_addc_co_u32_e32 v8, vcc, v6, v7, vcc
	v_lshlrev_b64 v[6:7], 3, v[0:1]
	v_add_co_u32_e32 v6, vcc, v5, v6
	v_addc_co_u32_e32 v7, vcc, v8, v7, vcc
	global_load_dwordx2 v[6:7], v[6:7], off
	s_waitcnt vmcnt(0)
	v_mul_f64 v[2:3], v[2:3], v[6:7]
.LBB3_12:
	v_cmp_gt_i32_e32 vcc, s3, v4
	s_and_saveexec_b64 s[0:1], vcc
	s_cbranch_execz .LBB3_16
; %bb.13:
	v_lshlrev_b64 v[6:7], 3, v[0:1]
	v_mov_b32_e32 v5, s6
	v_add_co_u32_e32 v10, vcc, s2, v6
	v_addc_co_u32_e32 v11, vcc, v5, v7, vcc
	v_ashrrev_i32_e32 v5, 31, v4
	s_add_u32 s2, s14, s12
	v_mul_lo_u32 v12, s19, v4
	v_mul_lo_u32 v13, s18, v5
	v_mad_u64_u32 v[8:9], s[8:9], s18, v4, 0
	s_addc_u32 s6, s15, s13
	v_add3_u32 v9, v9, v13, v12
	s_add_u32 s2, s2, s10
	v_lshlrev_b64 v[8:9], 3, v[8:9]
	s_addc_u32 s6, s6, s11
	v_add_u32_e32 v6, 2, v0
	v_mov_b32_e32 v12, s6
	v_add_co_u32_e32 v8, vcc, s2, v8
	s_lshl_b64 s[10:11], s[18:19], 3
	v_ashrrev_i32_e32 v7, 31, v6
	v_addc_co_u32_e32 v9, vcc, v12, v9, vcc
	s_mov_b64 s[8:9], 0
	v_mov_b32_e32 v12, s11
.LBB3_14:                               ; =>This Inner Loop Header: Depth=1
	v_mul_lo_u32 v13, v7, v4
	v_mul_lo_u32 v18, v6, v5
	v_mad_u64_u32 v[14:15], s[12:13], v6, v4, 0
	v_add3_u32 v15, v15, v18, v13
	v_lshlrev_b64 v[14:15], 2, v[14:15]
	v_and_b32_e32 v13, -8, v14
	v_add_co_u32_e32 v14, vcc, v10, v13
	v_addc_co_u32_e32 v15, vcc, v11, v15, vcc
	global_load_dwordx2 v[16:17], v[8:9], off
	v_add_co_u32_e32 v4, vcc, 1, v4
	global_load_dwordx2 v[14:15], v[14:15], off
	v_addc_co_u32_e32 v5, vcc, 0, v5, vcc
	v_add_co_u32_e32 v6, vcc, 1, v6
	v_addc_co_u32_e32 v7, vcc, 0, v7, vcc
	v_add_co_u32_e32 v8, vcc, s10, v8
	v_addc_co_u32_e32 v9, vcc, v9, v12, vcc
	v_cmp_le_i32_e32 vcc, s3, v4
	s_or_b64 s[8:9], vcc, s[8:9]
	s_waitcnt vmcnt(0)
	v_fmac_f64_e32 v[2:3], v[14:15], v[16:17]
	s_andn2_b64 exec, exec, s[8:9]
	s_cbranch_execnz .LBB3_14
; %bb.15:
	s_or_b64 exec, exec, s[8:9]
.LBB3_16:
	s_or_b64 exec, exec, s[0:1]
	s_waitcnt vmcnt(0)
	v_pk_mov_b32 v[4:5], v[2:3], v[2:3] op_sel:[0,1]
.LBB3_17:
	s_load_dwordx2 s[0:1], s[4:5], 0x48
	v_lshlrev_b64 v[0:1], 3, v[0:1]
	s_waitcnt lgkmcnt(0)
	s_mul_i32 s1, s7, s1
	s_mul_hi_u32 s2, s7, s0
	s_mul_i32 s0, s7, s0
	s_add_i32 s1, s2, s1
	s_lshl_b64 s[0:1], s[0:1], 3
	s_add_u32 s0, s22, s0
	s_addc_u32 s1, s23, s1
	s_waitcnt vmcnt(0)
	v_mov_b32_e32 v2, s1
	v_add_co_u32_e32 v0, vcc, s0, v0
	v_addc_co_u32_e32 v1, vcc, v2, v1, vcc
	global_store_dwordx2 v[0:1], v[4:5], off
.LBB3_18:
	s_endpgm
	.section	.rodata,"a",@progbits
	.p2align	6, 0x0
	.amdhsa_kernel _ZL20rocblas_tpmvn_kernelILi512EPKdPdS2_EvbbiT0_llT1_lllT2_li
		.amdhsa_group_segment_fixed_size 0
		.amdhsa_private_segment_fixed_size 0
		.amdhsa_kernarg_size 344
		.amdhsa_user_sgpr_count 6
		.amdhsa_user_sgpr_private_segment_buffer 1
		.amdhsa_user_sgpr_dispatch_ptr 0
		.amdhsa_user_sgpr_queue_ptr 0
		.amdhsa_user_sgpr_kernarg_segment_ptr 1
		.amdhsa_user_sgpr_dispatch_id 0
		.amdhsa_user_sgpr_flat_scratch_init 0
		.amdhsa_user_sgpr_kernarg_preload_length 0
		.amdhsa_user_sgpr_kernarg_preload_offset 0
		.amdhsa_user_sgpr_private_segment_size 0
		.amdhsa_uses_dynamic_stack 0
		.amdhsa_system_sgpr_private_segment_wavefront_offset 0
		.amdhsa_system_sgpr_workgroup_id_x 1
		.amdhsa_system_sgpr_workgroup_id_y 0
		.amdhsa_system_sgpr_workgroup_id_z 1
		.amdhsa_system_sgpr_workgroup_info 0
		.amdhsa_system_vgpr_workitem_id 0
		.amdhsa_next_free_vgpr 19
		.amdhsa_next_free_sgpr 38
		.amdhsa_accum_offset 20
		.amdhsa_reserve_vcc 1
		.amdhsa_reserve_flat_scratch 0
		.amdhsa_float_round_mode_32 0
		.amdhsa_float_round_mode_16_64 0
		.amdhsa_float_denorm_mode_32 3
		.amdhsa_float_denorm_mode_16_64 3
		.amdhsa_dx10_clamp 1
		.amdhsa_ieee_mode 1
		.amdhsa_fp16_overflow 0
		.amdhsa_tg_split 0
		.amdhsa_exception_fp_ieee_invalid_op 0
		.amdhsa_exception_fp_denorm_src 0
		.amdhsa_exception_fp_ieee_div_zero 0
		.amdhsa_exception_fp_ieee_overflow 0
		.amdhsa_exception_fp_ieee_underflow 0
		.amdhsa_exception_fp_ieee_inexact 0
		.amdhsa_exception_int_div_zero 0
	.end_amdhsa_kernel
	.section	.text._ZL20rocblas_tpmvn_kernelILi512EPKdPdS2_EvbbiT0_llT1_lllT2_li,"axG",@progbits,_ZL20rocblas_tpmvn_kernelILi512EPKdPdS2_EvbbiT0_llT1_lllT2_li,comdat
.Lfunc_end3:
	.size	_ZL20rocblas_tpmvn_kernelILi512EPKdPdS2_EvbbiT0_llT1_lllT2_li, .Lfunc_end3-_ZL20rocblas_tpmvn_kernelILi512EPKdPdS2_EvbbiT0_llT1_lllT2_li
                                        ; -- End function
	.section	.AMDGPU.csdata,"",@progbits
; Kernel info:
; codeLenInByte = 1012
; NumSgprs: 42
; NumVgprs: 19
; NumAgprs: 0
; TotalNumVgprs: 19
; ScratchSize: 0
; MemoryBound: 0
; FloatMode: 240
; IeeeMode: 1
; LDSByteSize: 0 bytes/workgroup (compile time only)
; SGPRBlocks: 5
; VGPRBlocks: 2
; NumSGPRsForWavesPerEU: 42
; NumVGPRsForWavesPerEU: 19
; AccumOffset: 20
; Occupancy: 8
; WaveLimiterHint : 0
; COMPUTE_PGM_RSRC2:SCRATCH_EN: 0
; COMPUTE_PGM_RSRC2:USER_SGPR: 6
; COMPUTE_PGM_RSRC2:TRAP_HANDLER: 0
; COMPUTE_PGM_RSRC2:TGID_X_EN: 1
; COMPUTE_PGM_RSRC2:TGID_Y_EN: 0
; COMPUTE_PGM_RSRC2:TGID_Z_EN: 1
; COMPUTE_PGM_RSRC2:TIDIG_COMP_CNT: 0
; COMPUTE_PGM_RSRC3_GFX90A:ACCUM_OFFSET: 4
; COMPUTE_PGM_RSRC3_GFX90A:TG_SPLIT: 0
	.section	.text._ZL20rocblas_tpmvt_kernelILi512EPKdPdS2_EvbbiT0_llT1_lllT2_li,"axG",@progbits,_ZL20rocblas_tpmvt_kernelILi512EPKdPdS2_EvbbiT0_llT1_lllT2_li,comdat
	.globl	_ZL20rocblas_tpmvt_kernelILi512EPKdPdS2_EvbbiT0_llT1_lllT2_li ; -- Begin function _ZL20rocblas_tpmvt_kernelILi512EPKdPdS2_EvbbiT0_llT1_lllT2_li
	.p2align	8
	.type	_ZL20rocblas_tpmvt_kernelILi512EPKdPdS2_EvbbiT0_llT1_lllT2_li,@function
_ZL20rocblas_tpmvt_kernelILi512EPKdPdS2_EvbbiT0_llT1_lllT2_li: ; @_ZL20rocblas_tpmvt_kernelILi512EPKdPdS2_EvbbiT0_llT1_lllT2_li
; %bb.0:
	s_load_dword s0, s[4:5], 0x64
	s_load_dwordx2 s[24:25], s[4:5], 0x0
	s_waitcnt lgkmcnt(0)
	s_and_b32 s0, s0, 0xffff
	s_mul_i32 s6, s6, s0
	v_add_u32_e32 v0, s6, v0
	v_cmp_gt_i32_e32 vcc, s25, v0
	s_and_saveexec_b64 s[0:1], vcc
	s_cbranch_execz .LBB4_18
; %bb.1:
	s_load_dword s0, s[4:5], 0x0
	s_load_dwordx16 s[8:23], s[4:5], 0x8
	v_ashrrev_i32_e32 v1, 31, v0
	s_waitcnt lgkmcnt(0)
	s_and_b32 s28, s0, 1
	s_mul_i32 s2, s7, s13
	s_mul_hi_u32 s3, s7, s12
	s_bitcmp1_b32 s24, 8
	s_cselect_b64 s[0:1], -1, 0
	s_add_i32 s3, s3, s2
	s_mul_i32 s2, s7, s12
	s_xor_b64 s[0:1], s[0:1], -1
	s_lshl_b64 s[12:13], s[2:3], 3
	s_add_u32 s2, s8, s12
	s_addc_u32 s3, s9, s13
	s_lshl_b64 s[10:11], s[10:11], 3
	s_add_u32 s6, s2, s10
	s_addc_u32 s24, s3, s11
	s_mul_i32 s2, s7, s21
	s_mul_hi_u32 s3, s7, s20
	s_add_i32 s3, s3, s2
	s_mul_i32 s2, s7, s20
	s_lshl_b64 s[20:21], s[2:3], 3
	s_add_u32 s2, s14, s20
	s_addc_u32 s3, s15, s21
	s_lshl_b64 s[26:27], s[16:17], 3
	v_mul_lo_u32 v4, v0, s19
	v_mul_lo_u32 v5, v1, s18
	v_mad_u64_u32 v[2:3], s[16:17], v0, s18, 0
	s_add_u32 s2, s2, s26
	v_add3_u32 v3, v3, v4, v5
	s_addc_u32 s3, s3, s27
	v_lshlrev_b64 v[2:3], 3, v[2:3]
	v_mov_b32_e32 v4, s3
	v_add_co_u32_e32 v2, vcc, s2, v2
	v_addc_co_u32_e32 v3, vcc, v4, v3, vcc
	global_load_dwordx2 v[2:3], v[2:3], off
	v_cndmask_b32_e64 v4, 0, 1, s[0:1]
	s_mov_b64 s[16:17], -1
	s_cmp_eq_u32 s28, 0
	v_cmp_ne_u32_e64 s[0:1], 1, v4
	s_cbranch_scc0 .LBB4_9
; %bb.2:
	s_and_b64 vcc, exec, s[0:1]
	s_waitcnt vmcnt(0)
	v_pk_mov_b32 v[4:5], v[2:3], v[2:3] op_sel:[0,1]
	s_cbranch_vccnz .LBB4_4
; %bb.3:
	v_add_co_u32_e32 v6, vcc, -1, v0
	v_addc_co_u32_e32 v7, vcc, -1, v1, vcc
	v_mul_lo_u32 v8, v7, v0
	v_mul_lo_u32 v9, v6, v1
	v_mad_u64_u32 v[6:7], s[16:17], v6, v0, 0
	v_add3_u32 v7, v7, v9, v8
	v_mad_i64_i32 v[4:5], s[16:17], v0, s25, 0
	v_lshrrev_b64 v[6:7], 1, v[6:7]
	v_sub_co_u32_e32 v4, vcc, v4, v6
	v_subb_co_u32_e32 v5, vcc, v5, v7, vcc
	v_lshlrev_b64 v[4:5], 3, v[4:5]
	v_mov_b32_e32 v6, s24
	v_add_co_u32_e32 v4, vcc, s6, v4
	v_addc_co_u32_e32 v5, vcc, v6, v5, vcc
	global_load_dwordx2 v[4:5], v[4:5], off
	s_waitcnt vmcnt(0)
	v_mul_f64 v[4:5], v[2:3], v[4:5]
.LBB4_4:
	v_add_u32_e32 v6, 1, v0
	v_cmp_gt_i32_e32 vcc, s25, v6
	s_and_saveexec_b64 s[16:17], vcc
	s_cbranch_execz .LBB4_8
; %bb.5:
	v_add_co_u32_e32 v7, vcc, -1, v0
	s_ashr_i32 s29, s25, 31
	v_addc_co_u32_e32 v8, vcc, -1, v1, vcc
	v_mul_lo_u32 v8, v8, v0
	v_mul_lo_u32 v9, v7, v1
	v_mad_u64_u32 v[10:11], s[30:31], v7, v0, 0
	v_ashrrev_i32_e32 v7, 31, v6
	s_add_u32 s14, s14, s26
	v_add3_u32 v11, v11, v9, v8
	v_mul_lo_u32 v12, s19, v6
	v_mul_lo_u32 v13, s18, v7
	v_mad_u64_u32 v[8:9], s[30:31], s18, v6, 0
	s_addc_u32 s15, s15, s27
	v_add3_u32 v9, v9, v13, v12
	s_add_u32 s14, s14, s20
	s_mov_b32 s28, s25
	v_lshlrev_b64 v[8:9], 3, v[8:9]
	s_addc_u32 s15, s15, s21
	v_mov_b32_e32 v12, s15
	v_add_co_u32_e32 v8, vcc, s14, v8
	s_lshl_b64 s[14:15], s[18:19], 3
	s_lshl_b64 s[20:21], s[28:29], 3
	s_add_u32 s20, s20, -8
	s_addc_u32 s21, s21, -1
	s_add_u32 s10, s10, s12
	s_addc_u32 s11, s11, s13
	v_addc_co_u32_e32 v9, vcc, v12, v9, vcc
	v_pk_mov_b32 v[12:13], s[10:11], s[10:11] op_sel:[0,1]
	v_mad_u64_u32 v[12:13], s[10:11], s20, v0, v[12:13]
	v_mul_lo_u32 v14, s20, v1
	v_mul_lo_u32 v15, s21, v0
	v_add3_u32 v13, v15, v13, v14
	v_lshlrev_b64 v[14:15], 3, v[6:7]
	v_add_co_u32_e32 v7, vcc, v12, v14
	v_lshlrev_b64 v[10:11], 2, v[10:11]
	v_addc_co_u32_e32 v12, vcc, v13, v15, vcc
	v_and_b32_e32 v10, -8, v10
	v_sub_co_u32_e32 v7, vcc, v7, v10
	v_subb_co_u32_e32 v11, vcc, v12, v11, vcc
	v_mov_b32_e32 v12, s9
	v_add_co_u32_e32 v10, vcc, s8, v7
	v_addc_co_u32_e32 v11, vcc, v12, v11, vcc
	s_mov_b64 s[8:9], 0
	v_mov_b32_e32 v7, s15
.LBB4_6:                                ; =>This Inner Loop Header: Depth=1
	global_load_dwordx2 v[12:13], v[10:11], off
	global_load_dwordx2 v[14:15], v[8:9], off
	v_add_co_u32_e32 v8, vcc, s14, v8
	v_addc_co_u32_e32 v9, vcc, v9, v7, vcc
	v_add_co_u32_e32 v10, vcc, 8, v10
	v_add_u32_e32 v6, 1, v6
	v_addc_co_u32_e32 v11, vcc, 0, v11, vcc
	v_cmp_le_i32_e32 vcc, s25, v6
	s_or_b64 s[8:9], vcc, s[8:9]
	s_waitcnt vmcnt(0)
	v_fmac_f64_e32 v[4:5], v[12:13], v[14:15]
	s_andn2_b64 exec, exec, s[8:9]
	s_cbranch_execnz .LBB4_6
; %bb.7:
	s_or_b64 exec, exec, s[8:9]
.LBB4_8:
	s_or_b64 exec, exec, s[16:17]
	s_branch .LBB4_17
.LBB4_9:
                                        ; implicit-def: $vgpr4_vgpr5
	s_and_b64 vcc, exec, s[16:17]
	s_cbranch_vccz .LBB4_17
; %bb.10:
	s_and_b64 vcc, exec, s[0:1]
	v_add_u32_e32 v4, 1, v0
	s_cbranch_vccnz .LBB4_12
; %bb.11:
	v_mad_i64_i32 v[6:7], s[0:1], v4, v0, 0
	v_lshlrev_b64 v[6:7], 2, v[6:7]
	v_and_b32_e32 v5, -8, v6
	v_mov_b32_e32 v6, s24
	v_add_co_u32_e32 v5, vcc, s6, v5
	v_addc_co_u32_e32 v8, vcc, v6, v7, vcc
	v_lshlrev_b64 v[6:7], 3, v[0:1]
	v_add_co_u32_e32 v6, vcc, v5, v6
	v_addc_co_u32_e32 v7, vcc, v8, v7, vcc
	global_load_dwordx2 v[6:7], v[6:7], off
	s_waitcnt vmcnt(0)
	v_mul_f64 v[2:3], v[2:3], v[6:7]
.LBB4_12:
	v_cmp_lt_i32_e32 vcc, 0, v0
	s_and_saveexec_b64 s[0:1], vcc
	s_cbranch_execz .LBB4_16
; %bb.13:
	v_mad_u64_u32 v[6:7], s[8:9], v4, v0, 0
	v_mov_b32_e32 v8, v7
	v_mad_u64_u32 v[4:5], s[8:9], v4, v1, v[8:9]
	v_mov_b32_e32 v7, v4
	v_lshlrev_b64 v[4:5], 2, v[6:7]
	v_and_b32_e32 v4, -8, v4
	v_mov_b32_e32 v6, s24
	v_add_co_u32_e32 v4, vcc, s6, v4
	v_addc_co_u32_e32 v5, vcc, v6, v5, vcc
	s_lshl_b64 s[10:11], s[18:19], 3
	s_mov_b64 s[8:9], 0
	v_mov_b32_e32 v6, v0
.LBB4_14:                               ; =>This Inner Loop Header: Depth=1
	global_load_dwordx2 v[8:9], v[4:5], off
	s_load_dwordx2 s[12:13], s[2:3], 0x0
	v_add_co_u32_e32 v4, vcc, 8, v4
	v_add_u32_e32 v6, -1, v6
	v_addc_co_u32_e32 v5, vcc, 0, v5, vcc
	s_add_u32 s2, s2, s10
	s_addc_u32 s3, s3, s11
	v_cmp_eq_u32_e32 vcc, 0, v6
	s_or_b64 s[8:9], vcc, s[8:9]
	s_waitcnt vmcnt(0) lgkmcnt(0)
	v_fmac_f64_e32 v[2:3], s[12:13], v[8:9]
	s_andn2_b64 exec, exec, s[8:9]
	s_cbranch_execnz .LBB4_14
; %bb.15:
	s_or_b64 exec, exec, s[8:9]
.LBB4_16:
	s_or_b64 exec, exec, s[0:1]
	s_waitcnt vmcnt(0)
	v_pk_mov_b32 v[4:5], v[2:3], v[2:3] op_sel:[0,1]
.LBB4_17:
	s_load_dwordx2 s[0:1], s[4:5], 0x48
	v_lshlrev_b64 v[0:1], 3, v[0:1]
	s_waitcnt lgkmcnt(0)
	s_mul_i32 s1, s7, s1
	s_mul_hi_u32 s2, s7, s0
	s_mul_i32 s0, s7, s0
	s_add_i32 s1, s2, s1
	s_lshl_b64 s[0:1], s[0:1], 3
	s_add_u32 s0, s22, s0
	s_addc_u32 s1, s23, s1
	s_waitcnt vmcnt(0)
	v_mov_b32_e32 v2, s1
	v_add_co_u32_e32 v0, vcc, s0, v0
	v_addc_co_u32_e32 v1, vcc, v2, v1, vcc
	global_store_dwordx2 v[0:1], v[4:5], off
.LBB4_18:
	s_endpgm
	.section	.rodata,"a",@progbits
	.p2align	6, 0x0
	.amdhsa_kernel _ZL20rocblas_tpmvt_kernelILi512EPKdPdS2_EvbbiT0_llT1_lllT2_li
		.amdhsa_group_segment_fixed_size 0
		.amdhsa_private_segment_fixed_size 0
		.amdhsa_kernarg_size 344
		.amdhsa_user_sgpr_count 6
		.amdhsa_user_sgpr_private_segment_buffer 1
		.amdhsa_user_sgpr_dispatch_ptr 0
		.amdhsa_user_sgpr_queue_ptr 0
		.amdhsa_user_sgpr_kernarg_segment_ptr 1
		.amdhsa_user_sgpr_dispatch_id 0
		.amdhsa_user_sgpr_flat_scratch_init 0
		.amdhsa_user_sgpr_kernarg_preload_length 0
		.amdhsa_user_sgpr_kernarg_preload_offset 0
		.amdhsa_user_sgpr_private_segment_size 0
		.amdhsa_uses_dynamic_stack 0
		.amdhsa_system_sgpr_private_segment_wavefront_offset 0
		.amdhsa_system_sgpr_workgroup_id_x 1
		.amdhsa_system_sgpr_workgroup_id_y 0
		.amdhsa_system_sgpr_workgroup_id_z 1
		.amdhsa_system_sgpr_workgroup_info 0
		.amdhsa_system_vgpr_workitem_id 0
		.amdhsa_next_free_vgpr 16
		.amdhsa_next_free_sgpr 32
		.amdhsa_accum_offset 16
		.amdhsa_reserve_vcc 1
		.amdhsa_reserve_flat_scratch 0
		.amdhsa_float_round_mode_32 0
		.amdhsa_float_round_mode_16_64 0
		.amdhsa_float_denorm_mode_32 3
		.amdhsa_float_denorm_mode_16_64 3
		.amdhsa_dx10_clamp 1
		.amdhsa_ieee_mode 1
		.amdhsa_fp16_overflow 0
		.amdhsa_tg_split 0
		.amdhsa_exception_fp_ieee_invalid_op 0
		.amdhsa_exception_fp_denorm_src 0
		.amdhsa_exception_fp_ieee_div_zero 0
		.amdhsa_exception_fp_ieee_overflow 0
		.amdhsa_exception_fp_ieee_underflow 0
		.amdhsa_exception_fp_ieee_inexact 0
		.amdhsa_exception_int_div_zero 0
	.end_amdhsa_kernel
	.section	.text._ZL20rocblas_tpmvt_kernelILi512EPKdPdS2_EvbbiT0_llT1_lllT2_li,"axG",@progbits,_ZL20rocblas_tpmvt_kernelILi512EPKdPdS2_EvbbiT0_llT1_lllT2_li,comdat
.Lfunc_end4:
	.size	_ZL20rocblas_tpmvt_kernelILi512EPKdPdS2_EvbbiT0_llT1_lllT2_li, .Lfunc_end4-_ZL20rocblas_tpmvt_kernelILi512EPKdPdS2_EvbbiT0_llT1_lllT2_li
                                        ; -- End function
	.section	.AMDGPU.csdata,"",@progbits
; Kernel info:
; codeLenInByte = 1024
; NumSgprs: 36
; NumVgprs: 16
; NumAgprs: 0
; TotalNumVgprs: 16
; ScratchSize: 0
; MemoryBound: 0
; FloatMode: 240
; IeeeMode: 1
; LDSByteSize: 0 bytes/workgroup (compile time only)
; SGPRBlocks: 4
; VGPRBlocks: 1
; NumSGPRsForWavesPerEU: 36
; NumVGPRsForWavesPerEU: 16
; AccumOffset: 16
; Occupancy: 8
; WaveLimiterHint : 0
; COMPUTE_PGM_RSRC2:SCRATCH_EN: 0
; COMPUTE_PGM_RSRC2:USER_SGPR: 6
; COMPUTE_PGM_RSRC2:TRAP_HANDLER: 0
; COMPUTE_PGM_RSRC2:TGID_X_EN: 1
; COMPUTE_PGM_RSRC2:TGID_Y_EN: 0
; COMPUTE_PGM_RSRC2:TGID_Z_EN: 1
; COMPUTE_PGM_RSRC2:TIDIG_COMP_CNT: 0
; COMPUTE_PGM_RSRC3_GFX90A:ACCUM_OFFSET: 3
; COMPUTE_PGM_RSRC3_GFX90A:TG_SPLIT: 0
	.section	.text._ZL20rocblas_tpmvc_kernelILi512EPKdPdS2_EvbbiT0_llT1_lllT2_li,"axG",@progbits,_ZL20rocblas_tpmvc_kernelILi512EPKdPdS2_EvbbiT0_llT1_lllT2_li,comdat
	.globl	_ZL20rocblas_tpmvc_kernelILi512EPKdPdS2_EvbbiT0_llT1_lllT2_li ; -- Begin function _ZL20rocblas_tpmvc_kernelILi512EPKdPdS2_EvbbiT0_llT1_lllT2_li
	.p2align	8
	.type	_ZL20rocblas_tpmvc_kernelILi512EPKdPdS2_EvbbiT0_llT1_lllT2_li,@function
_ZL20rocblas_tpmvc_kernelILi512EPKdPdS2_EvbbiT0_llT1_lllT2_li: ; @_ZL20rocblas_tpmvc_kernelILi512EPKdPdS2_EvbbiT0_llT1_lllT2_li
; %bb.0:
	s_load_dword s0, s[4:5], 0x64
	s_load_dwordx2 s[24:25], s[4:5], 0x0
	s_waitcnt lgkmcnt(0)
	s_and_b32 s0, s0, 0xffff
	s_mul_i32 s6, s6, s0
	v_add_u32_e32 v0, s6, v0
	v_cmp_gt_i32_e32 vcc, s25, v0
	s_and_saveexec_b64 s[0:1], vcc
	s_cbranch_execz .LBB5_18
; %bb.1:
	s_load_dword s0, s[4:5], 0x0
	s_load_dwordx16 s[8:23], s[4:5], 0x8
	v_ashrrev_i32_e32 v1, 31, v0
	s_waitcnt lgkmcnt(0)
	s_and_b32 s28, s0, 1
	s_mul_i32 s2, s7, s13
	s_mul_hi_u32 s3, s7, s12
	s_bitcmp1_b32 s24, 8
	s_cselect_b64 s[0:1], -1, 0
	s_add_i32 s3, s3, s2
	s_mul_i32 s2, s7, s12
	s_xor_b64 s[0:1], s[0:1], -1
	s_lshl_b64 s[12:13], s[2:3], 3
	s_add_u32 s2, s8, s12
	s_addc_u32 s3, s9, s13
	s_lshl_b64 s[10:11], s[10:11], 3
	s_add_u32 s6, s2, s10
	s_addc_u32 s24, s3, s11
	s_mul_i32 s2, s7, s21
	s_mul_hi_u32 s3, s7, s20
	s_add_i32 s3, s3, s2
	s_mul_i32 s2, s7, s20
	s_lshl_b64 s[20:21], s[2:3], 3
	s_add_u32 s2, s14, s20
	s_addc_u32 s3, s15, s21
	s_lshl_b64 s[26:27], s[16:17], 3
	v_mul_lo_u32 v4, v0, s19
	v_mul_lo_u32 v5, v1, s18
	v_mad_u64_u32 v[2:3], s[16:17], v0, s18, 0
	s_add_u32 s2, s2, s26
	v_add3_u32 v3, v3, v4, v5
	s_addc_u32 s3, s3, s27
	v_lshlrev_b64 v[2:3], 3, v[2:3]
	v_mov_b32_e32 v4, s3
	v_add_co_u32_e32 v2, vcc, s2, v2
	v_addc_co_u32_e32 v3, vcc, v4, v3, vcc
	global_load_dwordx2 v[2:3], v[2:3], off
	v_cndmask_b32_e64 v4, 0, 1, s[0:1]
	s_mov_b64 s[16:17], -1
	s_cmp_eq_u32 s28, 0
	v_cmp_ne_u32_e64 s[0:1], 1, v4
	s_cbranch_scc0 .LBB5_9
; %bb.2:
	s_and_b64 vcc, exec, s[0:1]
	s_waitcnt vmcnt(0)
	v_pk_mov_b32 v[4:5], v[2:3], v[2:3] op_sel:[0,1]
	s_cbranch_vccnz .LBB5_4
; %bb.3:
	v_add_co_u32_e32 v6, vcc, -1, v0
	v_addc_co_u32_e32 v7, vcc, -1, v1, vcc
	v_mul_lo_u32 v8, v7, v0
	v_mul_lo_u32 v9, v6, v1
	v_mad_u64_u32 v[6:7], s[16:17], v6, v0, 0
	v_add3_u32 v7, v7, v9, v8
	v_mad_i64_i32 v[4:5], s[16:17], v0, s25, 0
	v_lshrrev_b64 v[6:7], 1, v[6:7]
	v_sub_co_u32_e32 v4, vcc, v4, v6
	v_subb_co_u32_e32 v5, vcc, v5, v7, vcc
	v_lshlrev_b64 v[4:5], 3, v[4:5]
	v_mov_b32_e32 v6, s24
	v_add_co_u32_e32 v4, vcc, s6, v4
	v_addc_co_u32_e32 v5, vcc, v6, v5, vcc
	global_load_dwordx2 v[4:5], v[4:5], off
	s_waitcnt vmcnt(0)
	v_mul_f64 v[4:5], v[2:3], v[4:5]
.LBB5_4:
	v_add_u32_e32 v6, 1, v0
	v_cmp_gt_i32_e32 vcc, s25, v6
	s_and_saveexec_b64 s[16:17], vcc
	s_cbranch_execz .LBB5_8
; %bb.5:
	v_add_co_u32_e32 v7, vcc, -1, v0
	s_ashr_i32 s29, s25, 31
	v_addc_co_u32_e32 v8, vcc, -1, v1, vcc
	v_mul_lo_u32 v8, v8, v0
	v_mul_lo_u32 v9, v7, v1
	v_mad_u64_u32 v[10:11], s[30:31], v7, v0, 0
	v_ashrrev_i32_e32 v7, 31, v6
	s_add_u32 s14, s14, s26
	v_add3_u32 v11, v11, v9, v8
	v_mul_lo_u32 v12, s19, v6
	v_mul_lo_u32 v13, s18, v7
	v_mad_u64_u32 v[8:9], s[30:31], s18, v6, 0
	s_addc_u32 s15, s15, s27
	v_add3_u32 v9, v9, v13, v12
	s_add_u32 s14, s14, s20
	s_mov_b32 s28, s25
	v_lshlrev_b64 v[8:9], 3, v[8:9]
	s_addc_u32 s15, s15, s21
	v_mov_b32_e32 v12, s15
	v_add_co_u32_e32 v8, vcc, s14, v8
	s_lshl_b64 s[14:15], s[18:19], 3
	s_lshl_b64 s[20:21], s[28:29], 3
	s_add_u32 s20, s20, -8
	s_addc_u32 s21, s21, -1
	s_add_u32 s10, s10, s12
	s_addc_u32 s11, s11, s13
	v_addc_co_u32_e32 v9, vcc, v12, v9, vcc
	v_pk_mov_b32 v[12:13], s[10:11], s[10:11] op_sel:[0,1]
	v_mad_u64_u32 v[12:13], s[10:11], s20, v0, v[12:13]
	v_mul_lo_u32 v14, s20, v1
	v_mul_lo_u32 v15, s21, v0
	v_add3_u32 v13, v15, v13, v14
	v_lshlrev_b64 v[14:15], 3, v[6:7]
	v_add_co_u32_e32 v7, vcc, v12, v14
	v_lshlrev_b64 v[10:11], 2, v[10:11]
	v_addc_co_u32_e32 v12, vcc, v13, v15, vcc
	v_and_b32_e32 v10, -8, v10
	v_sub_co_u32_e32 v7, vcc, v7, v10
	v_subb_co_u32_e32 v11, vcc, v12, v11, vcc
	v_mov_b32_e32 v12, s9
	v_add_co_u32_e32 v10, vcc, s8, v7
	v_addc_co_u32_e32 v11, vcc, v12, v11, vcc
	s_mov_b64 s[8:9], 0
	v_mov_b32_e32 v7, s15
.LBB5_6:                                ; =>This Inner Loop Header: Depth=1
	global_load_dwordx2 v[12:13], v[10:11], off
	global_load_dwordx2 v[14:15], v[8:9], off
	v_add_co_u32_e32 v8, vcc, s14, v8
	v_addc_co_u32_e32 v9, vcc, v9, v7, vcc
	v_add_co_u32_e32 v10, vcc, 8, v10
	v_add_u32_e32 v6, 1, v6
	v_addc_co_u32_e32 v11, vcc, 0, v11, vcc
	v_cmp_le_i32_e32 vcc, s25, v6
	s_or_b64 s[8:9], vcc, s[8:9]
	s_waitcnt vmcnt(0)
	v_fmac_f64_e32 v[4:5], v[12:13], v[14:15]
	s_andn2_b64 exec, exec, s[8:9]
	s_cbranch_execnz .LBB5_6
; %bb.7:
	s_or_b64 exec, exec, s[8:9]
.LBB5_8:
	s_or_b64 exec, exec, s[16:17]
	s_branch .LBB5_17
.LBB5_9:
                                        ; implicit-def: $vgpr4_vgpr5
	s_and_b64 vcc, exec, s[16:17]
	s_cbranch_vccz .LBB5_17
; %bb.10:
	s_and_b64 vcc, exec, s[0:1]
	v_add_u32_e32 v4, 1, v0
	s_cbranch_vccnz .LBB5_12
; %bb.11:
	v_mad_i64_i32 v[6:7], s[0:1], v4, v0, 0
	v_lshlrev_b64 v[6:7], 2, v[6:7]
	v_and_b32_e32 v5, -8, v6
	v_mov_b32_e32 v6, s24
	v_add_co_u32_e32 v5, vcc, s6, v5
	v_addc_co_u32_e32 v8, vcc, v6, v7, vcc
	v_lshlrev_b64 v[6:7], 3, v[0:1]
	v_add_co_u32_e32 v6, vcc, v5, v6
	v_addc_co_u32_e32 v7, vcc, v8, v7, vcc
	global_load_dwordx2 v[6:7], v[6:7], off
	s_waitcnt vmcnt(0)
	v_mul_f64 v[2:3], v[2:3], v[6:7]
.LBB5_12:
	v_cmp_lt_i32_e32 vcc, 0, v0
	s_and_saveexec_b64 s[0:1], vcc
	s_cbranch_execz .LBB5_16
; %bb.13:
	v_mad_u64_u32 v[6:7], s[8:9], v4, v0, 0
	v_mov_b32_e32 v8, v7
	v_mad_u64_u32 v[4:5], s[8:9], v4, v1, v[8:9]
	v_mov_b32_e32 v7, v4
	v_lshlrev_b64 v[4:5], 2, v[6:7]
	v_and_b32_e32 v4, -8, v4
	v_mov_b32_e32 v6, s24
	v_add_co_u32_e32 v4, vcc, s6, v4
	v_addc_co_u32_e32 v5, vcc, v6, v5, vcc
	s_lshl_b64 s[10:11], s[18:19], 3
	s_mov_b64 s[8:9], 0
	v_mov_b32_e32 v6, v0
.LBB5_14:                               ; =>This Inner Loop Header: Depth=1
	global_load_dwordx2 v[8:9], v[4:5], off
	s_load_dwordx2 s[12:13], s[2:3], 0x0
	v_add_co_u32_e32 v4, vcc, 8, v4
	v_add_u32_e32 v6, -1, v6
	v_addc_co_u32_e32 v5, vcc, 0, v5, vcc
	s_add_u32 s2, s2, s10
	s_addc_u32 s3, s3, s11
	v_cmp_eq_u32_e32 vcc, 0, v6
	s_or_b64 s[8:9], vcc, s[8:9]
	s_waitcnt vmcnt(0) lgkmcnt(0)
	v_fmac_f64_e32 v[2:3], s[12:13], v[8:9]
	s_andn2_b64 exec, exec, s[8:9]
	s_cbranch_execnz .LBB5_14
; %bb.15:
	s_or_b64 exec, exec, s[8:9]
.LBB5_16:
	s_or_b64 exec, exec, s[0:1]
	s_waitcnt vmcnt(0)
	v_pk_mov_b32 v[4:5], v[2:3], v[2:3] op_sel:[0,1]
.LBB5_17:
	s_load_dwordx2 s[0:1], s[4:5], 0x48
	v_lshlrev_b64 v[0:1], 3, v[0:1]
	s_waitcnt lgkmcnt(0)
	s_mul_i32 s1, s7, s1
	s_mul_hi_u32 s2, s7, s0
	s_mul_i32 s0, s7, s0
	s_add_i32 s1, s2, s1
	s_lshl_b64 s[0:1], s[0:1], 3
	s_add_u32 s0, s22, s0
	s_addc_u32 s1, s23, s1
	s_waitcnt vmcnt(0)
	v_mov_b32_e32 v2, s1
	v_add_co_u32_e32 v0, vcc, s0, v0
	v_addc_co_u32_e32 v1, vcc, v2, v1, vcc
	global_store_dwordx2 v[0:1], v[4:5], off
.LBB5_18:
	s_endpgm
	.section	.rodata,"a",@progbits
	.p2align	6, 0x0
	.amdhsa_kernel _ZL20rocblas_tpmvc_kernelILi512EPKdPdS2_EvbbiT0_llT1_lllT2_li
		.amdhsa_group_segment_fixed_size 0
		.amdhsa_private_segment_fixed_size 0
		.amdhsa_kernarg_size 344
		.amdhsa_user_sgpr_count 6
		.amdhsa_user_sgpr_private_segment_buffer 1
		.amdhsa_user_sgpr_dispatch_ptr 0
		.amdhsa_user_sgpr_queue_ptr 0
		.amdhsa_user_sgpr_kernarg_segment_ptr 1
		.amdhsa_user_sgpr_dispatch_id 0
		.amdhsa_user_sgpr_flat_scratch_init 0
		.amdhsa_user_sgpr_kernarg_preload_length 0
		.amdhsa_user_sgpr_kernarg_preload_offset 0
		.amdhsa_user_sgpr_private_segment_size 0
		.amdhsa_uses_dynamic_stack 0
		.amdhsa_system_sgpr_private_segment_wavefront_offset 0
		.amdhsa_system_sgpr_workgroup_id_x 1
		.amdhsa_system_sgpr_workgroup_id_y 0
		.amdhsa_system_sgpr_workgroup_id_z 1
		.amdhsa_system_sgpr_workgroup_info 0
		.amdhsa_system_vgpr_workitem_id 0
		.amdhsa_next_free_vgpr 16
		.amdhsa_next_free_sgpr 32
		.amdhsa_accum_offset 16
		.amdhsa_reserve_vcc 1
		.amdhsa_reserve_flat_scratch 0
		.amdhsa_float_round_mode_32 0
		.amdhsa_float_round_mode_16_64 0
		.amdhsa_float_denorm_mode_32 3
		.amdhsa_float_denorm_mode_16_64 3
		.amdhsa_dx10_clamp 1
		.amdhsa_ieee_mode 1
		.amdhsa_fp16_overflow 0
		.amdhsa_tg_split 0
		.amdhsa_exception_fp_ieee_invalid_op 0
		.amdhsa_exception_fp_denorm_src 0
		.amdhsa_exception_fp_ieee_div_zero 0
		.amdhsa_exception_fp_ieee_overflow 0
		.amdhsa_exception_fp_ieee_underflow 0
		.amdhsa_exception_fp_ieee_inexact 0
		.amdhsa_exception_int_div_zero 0
	.end_amdhsa_kernel
	.section	.text._ZL20rocblas_tpmvc_kernelILi512EPKdPdS2_EvbbiT0_llT1_lllT2_li,"axG",@progbits,_ZL20rocblas_tpmvc_kernelILi512EPKdPdS2_EvbbiT0_llT1_lllT2_li,comdat
.Lfunc_end5:
	.size	_ZL20rocblas_tpmvc_kernelILi512EPKdPdS2_EvbbiT0_llT1_lllT2_li, .Lfunc_end5-_ZL20rocblas_tpmvc_kernelILi512EPKdPdS2_EvbbiT0_llT1_lllT2_li
                                        ; -- End function
	.section	.AMDGPU.csdata,"",@progbits
; Kernel info:
; codeLenInByte = 1024
; NumSgprs: 36
; NumVgprs: 16
; NumAgprs: 0
; TotalNumVgprs: 16
; ScratchSize: 0
; MemoryBound: 0
; FloatMode: 240
; IeeeMode: 1
; LDSByteSize: 0 bytes/workgroup (compile time only)
; SGPRBlocks: 4
; VGPRBlocks: 1
; NumSGPRsForWavesPerEU: 36
; NumVGPRsForWavesPerEU: 16
; AccumOffset: 16
; Occupancy: 8
; WaveLimiterHint : 0
; COMPUTE_PGM_RSRC2:SCRATCH_EN: 0
; COMPUTE_PGM_RSRC2:USER_SGPR: 6
; COMPUTE_PGM_RSRC2:TRAP_HANDLER: 0
; COMPUTE_PGM_RSRC2:TGID_X_EN: 1
; COMPUTE_PGM_RSRC2:TGID_Y_EN: 0
; COMPUTE_PGM_RSRC2:TGID_Z_EN: 1
; COMPUTE_PGM_RSRC2:TIDIG_COMP_CNT: 0
; COMPUTE_PGM_RSRC3_GFX90A:ACCUM_OFFSET: 3
; COMPUTE_PGM_RSRC3_GFX90A:TG_SPLIT: 0
	.section	.text._ZL20rocblas_tpmvn_kernelILi512EPK19rocblas_complex_numIfEPS1_S4_EvbbiT0_llT1_lllT2_li,"axG",@progbits,_ZL20rocblas_tpmvn_kernelILi512EPK19rocblas_complex_numIfEPS1_S4_EvbbiT0_llT1_lllT2_li,comdat
	.globl	_ZL20rocblas_tpmvn_kernelILi512EPK19rocblas_complex_numIfEPS1_S4_EvbbiT0_llT1_lllT2_li ; -- Begin function _ZL20rocblas_tpmvn_kernelILi512EPK19rocblas_complex_numIfEPS1_S4_EvbbiT0_llT1_lllT2_li
	.p2align	8
	.type	_ZL20rocblas_tpmvn_kernelILi512EPK19rocblas_complex_numIfEPS1_S4_EvbbiT0_llT1_lllT2_li,@function
_ZL20rocblas_tpmvn_kernelILi512EPK19rocblas_complex_numIfEPS1_S4_EvbbiT0_llT1_lllT2_li: ; @_ZL20rocblas_tpmvn_kernelILi512EPK19rocblas_complex_numIfEPS1_S4_EvbbiT0_llT1_lllT2_li
; %bb.0:
	s_load_dword s0, s[4:5], 0x64
	s_load_dwordx2 s[2:3], s[4:5], 0x0
	s_waitcnt lgkmcnt(0)
	s_and_b32 s0, s0, 0xffff
	s_mul_i32 s6, s6, s0
	v_add_u32_e32 v0, s6, v0
	v_cmp_gt_i32_e32 vcc, s3, v0
	s_and_saveexec_b64 s[0:1], vcc
	s_cbranch_execz .LBB6_18
; %bb.1:
	s_load_dword s0, s[4:5], 0x0
	s_load_dwordx16 s[8:23], s[4:5], 0x8
	v_ashrrev_i32_e32 v1, 31, v0
	s_waitcnt lgkmcnt(0)
	s_and_b32 s28, s0, 1
	s_mul_i32 s6, s7, s13
	s_mul_hi_u32 s13, s7, s12
	s_bitcmp1_b32 s2, 8
	s_cselect_b64 s[0:1], -1, 0
	s_add_i32 s13, s13, s6
	s_mul_i32 s12, s7, s12
	s_xor_b64 s[0:1], s[0:1], -1
	s_lshl_b64 s[24:25], s[12:13], 3
	s_add_u32 s2, s8, s24
	s_addc_u32 s6, s9, s25
	s_lshl_b64 s[26:27], s[10:11], 3
	s_add_u32 s2, s2, s26
	s_mul_i32 s10, s7, s21
	s_mul_hi_u32 s11, s7, s20
	s_addc_u32 s6, s6, s27
	s_add_i32 s11, s11, s10
	s_mul_i32 s10, s7, s20
	s_lshl_b64 s[10:11], s[10:11], 3
	s_add_u32 s20, s14, s10
	s_addc_u32 s21, s15, s11
	s_lshl_b64 s[12:13], s[16:17], 3
	v_mul_lo_u32 v4, v0, s19
	v_mul_lo_u32 v5, v1, s18
	v_mad_u64_u32 v[2:3], s[16:17], v0, s18, 0
	s_add_u32 s20, s20, s12
	v_add3_u32 v3, v3, v4, v5
	s_addc_u32 s21, s21, s13
	v_lshlrev_b64 v[2:3], 3, v[2:3]
	v_mov_b32_e32 v4, s21
	v_add_co_u32_e32 v2, vcc, s20, v2
	v_addc_co_u32_e32 v3, vcc, v4, v3, vcc
	global_load_dwordx2 v[4:5], v[2:3], off
	v_cndmask_b32_e64 v2, 0, 1, s[0:1]
	s_mov_b64 s[16:17], -1
	s_cmp_eq_u32 s28, 0
	v_cmp_ne_u32_e64 s[0:1], 1, v2
	s_cbranch_scc0 .LBB6_9
; %bb.2:
	s_and_b64 vcc, exec, s[0:1]
	s_waitcnt vmcnt(0)
	v_mov_b32_e32 v2, v4
	v_mov_b32_e32 v3, v5
	s_cbranch_vccnz .LBB6_4
; %bb.3:
	v_add_co_u32_e32 v6, vcc, -1, v0
	v_addc_co_u32_e32 v7, vcc, -1, v1, vcc
	v_mul_lo_u32 v8, v7, v0
	v_mul_lo_u32 v9, v6, v1
	v_mad_u64_u32 v[6:7], s[16:17], v6, v0, 0
	v_add3_u32 v7, v7, v9, v8
	v_mad_i64_i32 v[2:3], s[16:17], v0, s3, 0
	v_lshrrev_b64 v[6:7], 1, v[6:7]
	v_sub_co_u32_e32 v2, vcc, v2, v6
	v_subb_co_u32_e32 v3, vcc, v3, v7, vcc
	v_lshlrev_b64 v[2:3], 3, v[2:3]
	v_mov_b32_e32 v6, s6
	v_add_co_u32_e32 v2, vcc, s2, v2
	v_addc_co_u32_e32 v3, vcc, v6, v3, vcc
	global_load_dwordx2 v[6:7], v[2:3], off
	s_waitcnt vmcnt(0)
	v_mul_f32_e32 v2, v5, v7
	v_mul_f32_e32 v3, v4, v7
	v_fma_f32 v2, v4, v6, -v2
	v_fmac_f32_e32 v3, v5, v6
.LBB6_4:
	v_cmp_lt_i32_e32 vcc, 0, v0
	s_and_saveexec_b64 s[16:17], vcc
	s_cbranch_execz .LBB6_8
; %bb.5:
	s_ashr_i32 s21, s3, 31
	s_add_u32 s24, s24, s26
	s_addc_u32 s25, s25, s27
	s_add_u32 s8, s8, s24
	s_mov_b32 s20, s3
	v_lshlrev_b64 v[6:7], 3, v[0:1]
	s_addc_u32 s9, s9, s25
	v_mov_b32_e32 v8, s9
	v_add_co_u32_e32 v6, vcc, s8, v6
	s_lshl_b64 s[8:9], s[20:21], 3
	s_add_u32 s30, s8, -8
	s_addc_u32 s24, s9, -1
	s_add_u32 s8, s10, s12
	s_addc_u32 s9, s11, s13
	s_add_u32 s8, s8, s14
	s_addc_u32 s9, s9, s15
	s_add_u32 s31, s8, 4
	v_addc_co_u32_e32 v7, vcc, v8, v7, vcc
	s_addc_u32 s33, s9, 0
	s_lshl_b64 s[20:21], s[18:19], 3
	s_mov_b64 s[8:9], 0
	v_mov_b32_e32 v8, s24
	s_mov_b64 s[24:25], 0
	s_mov_b64 s[28:29], 0
	;; [unrolled: 1-line block ×3, first 2 shown]
.LBB6_6:                                ; =>This Inner Loop Header: Depth=1
	s_lshl_b64 s[34:35], s[24:25], 2
	s_and_b32 s34, s34, -8
	v_mov_b32_e32 v9, s35
	v_subrev_co_u32_e32 v10, vcc, s34, v6
	v_subb_co_u32_e32 v11, vcc, v7, v9, vcc
	global_load_dwordx2 v[10:11], v[10:11], off
	s_add_u32 s34, s31, -4
	s_addc_u32 s35, s33, -1
	s_add_u32 s26, s26, 1
	s_load_dwordx2 s[34:35], s[34:35], 0x0
	s_addc_u32 s27, s27, 0
	s_add_u32 s36, s28, 2
	s_addc_u32 s37, s29, 0
	s_add_u32 s24, s24, s28
	v_add_co_u32_e32 v6, vcc, s30, v6
	s_addc_u32 s25, s25, s29
	v_addc_co_u32_e32 v7, vcc, v7, v8, vcc
	s_add_u32 s31, s31, s20
	v_cmp_eq_u32_e32 vcc, s26, v0
	s_addc_u32 s33, s33, s21
	s_mov_b64 s[28:29], s[36:37]
	s_or_b64 s[8:9], vcc, s[8:9]
	s_waitcnt vmcnt(0) lgkmcnt(0)
	v_mul_f32_e32 v9, s35, v11
	v_mul_f32_e32 v11, s34, v11
	v_fma_f32 v9, s34, v10, -v9
	v_fmac_f32_e32 v11, s35, v10
	v_add_f32_e32 v2, v2, v9
	v_add_f32_e32 v3, v3, v11
	s_andn2_b64 exec, exec, s[8:9]
	s_cbranch_execnz .LBB6_6
; %bb.7:
	s_or_b64 exec, exec, s[8:9]
.LBB6_8:
	s_or_b64 exec, exec, s[16:17]
	s_branch .LBB6_17
.LBB6_9:
                                        ; implicit-def: $vgpr3
	s_and_b64 vcc, exec, s[16:17]
	s_cbranch_vccz .LBB6_17
; %bb.10:
	s_and_b64 vcc, exec, s[0:1]
	v_add_u32_e32 v6, 1, v0
	s_cbranch_vccnz .LBB6_12
; %bb.11:
	v_mad_i64_i32 v[2:3], s[0:1], v6, v0, 0
	v_lshlrev_b64 v[2:3], 2, v[2:3]
	v_and_b32_e32 v2, -8, v2
	v_mov_b32_e32 v7, s6
	v_add_co_u32_e32 v8, vcc, s2, v2
	v_addc_co_u32_e32 v7, vcc, v7, v3, vcc
	v_lshlrev_b64 v[2:3], 3, v[0:1]
	v_add_co_u32_e32 v2, vcc, v8, v2
	v_addc_co_u32_e32 v3, vcc, v7, v3, vcc
	global_load_dwordx2 v[8:9], v[2:3], off
	s_waitcnt vmcnt(0)
	v_pk_mul_f32 v[10:11], v[4:5], v[8:9]
	v_mul_f32_e32 v3, v5, v8
	v_sub_f32_e32 v2, v10, v11
	v_fmac_f32_e32 v3, v4, v9
	v_cmp_gt_i32_e32 vcc, s3, v6
	s_and_saveexec_b64 s[0:1], vcc
	s_cbranch_execnz .LBB6_13
	s_branch .LBB6_16
.LBB6_12:
	s_waitcnt vmcnt(0)
	v_mov_b32_e32 v2, v4
	v_mov_b32_e32 v3, v5
	v_cmp_gt_i32_e32 vcc, s3, v6
	s_and_saveexec_b64 s[0:1], vcc
	s_cbranch_execz .LBB6_16
.LBB6_13:
	v_lshlrev_b64 v[4:5], 3, v[0:1]
	v_mov_b32_e32 v7, s6
	v_add_co_u32_e32 v10, vcc, s2, v4
	v_addc_co_u32_e32 v11, vcc, v7, v5, vcc
	v_ashrrev_i32_e32 v7, 31, v6
	s_add_u32 s2, s14, s12
	v_mul_lo_u32 v12, s19, v6
	v_mul_lo_u32 v13, s18, v7
	v_mad_u64_u32 v[8:9], s[8:9], s18, v6, 0
	s_addc_u32 s6, s15, s13
	v_add3_u32 v9, v9, v13, v12
	s_add_u32 s2, s2, s10
	v_lshlrev_b64 v[8:9], 3, v[8:9]
	s_addc_u32 s6, s6, s11
	v_mov_b32_e32 v12, s6
	v_add_co_u32_e32 v8, vcc, s2, v8
	v_addc_co_u32_e32 v9, vcc, v12, v9, vcc
	v_add_u32_e32 v4, 2, v0
	v_add_co_u32_e32 v8, vcc, 4, v8
	s_lshl_b64 s[10:11], s[18:19], 3
	v_ashrrev_i32_e32 v5, 31, v4
	v_addc_co_u32_e32 v9, vcc, 0, v9, vcc
	s_mov_b64 s[8:9], 0
	v_mov_b32_e32 v12, s11
.LBB6_14:                               ; =>This Inner Loop Header: Depth=1
	v_mul_lo_u32 v13, v5, v6
	v_mul_lo_u32 v18, v4, v7
	v_mad_u64_u32 v[14:15], s[12:13], v4, v6, 0
	v_add3_u32 v15, v15, v18, v13
	v_lshlrev_b64 v[14:15], 2, v[14:15]
	v_and_b32_e32 v13, -8, v14
	v_add_co_u32_e32 v14, vcc, v10, v13
	v_addc_co_u32_e32 v15, vcc, v11, v15, vcc
	global_load_dwordx2 v[16:17], v[8:9], off offset:-4
	v_add_co_u32_e32 v6, vcc, 1, v6
	global_load_dwordx2 v[14:15], v[14:15], off
	v_addc_co_u32_e32 v7, vcc, 0, v7, vcc
	v_add_co_u32_e32 v4, vcc, 1, v4
	v_addc_co_u32_e32 v5, vcc, 0, v5, vcc
	v_add_co_u32_e32 v8, vcc, s10, v8
	v_addc_co_u32_e32 v9, vcc, v9, v12, vcc
	v_cmp_le_i32_e32 vcc, s3, v6
	s_or_b64 s[8:9], vcc, s[8:9]
	s_waitcnt vmcnt(0)
	v_mul_f32_e32 v13, v17, v15
	v_mul_f32_e32 v15, v16, v15
	v_fma_f32 v13, v16, v14, -v13
	v_fmac_f32_e32 v15, v17, v14
	v_add_f32_e32 v2, v2, v13
	v_add_f32_e32 v3, v3, v15
	s_andn2_b64 exec, exec, s[8:9]
	s_cbranch_execnz .LBB6_14
; %bb.15:
	s_or_b64 exec, exec, s[8:9]
.LBB6_16:
	s_or_b64 exec, exec, s[0:1]
.LBB6_17:
	s_load_dwordx2 s[0:1], s[4:5], 0x48
	v_lshlrev_b64 v[0:1], 3, v[0:1]
	s_waitcnt lgkmcnt(0)
	s_mul_i32 s1, s7, s1
	s_mul_hi_u32 s2, s7, s0
	s_mul_i32 s0, s7, s0
	s_add_i32 s1, s2, s1
	s_lshl_b64 s[0:1], s[0:1], 3
	s_add_u32 s0, s22, s0
	s_addc_u32 s1, s23, s1
	s_waitcnt vmcnt(0)
	v_mov_b32_e32 v4, s1
	v_add_co_u32_e32 v0, vcc, s0, v0
	v_addc_co_u32_e32 v1, vcc, v4, v1, vcc
	global_store_dwordx2 v[0:1], v[2:3], off
.LBB6_18:
	s_endpgm
	.section	.rodata,"a",@progbits
	.p2align	6, 0x0
	.amdhsa_kernel _ZL20rocblas_tpmvn_kernelILi512EPK19rocblas_complex_numIfEPS1_S4_EvbbiT0_llT1_lllT2_li
		.amdhsa_group_segment_fixed_size 0
		.amdhsa_private_segment_fixed_size 0
		.amdhsa_kernarg_size 344
		.amdhsa_user_sgpr_count 6
		.amdhsa_user_sgpr_private_segment_buffer 1
		.amdhsa_user_sgpr_dispatch_ptr 0
		.amdhsa_user_sgpr_queue_ptr 0
		.amdhsa_user_sgpr_kernarg_segment_ptr 1
		.amdhsa_user_sgpr_dispatch_id 0
		.amdhsa_user_sgpr_flat_scratch_init 0
		.amdhsa_user_sgpr_kernarg_preload_length 0
		.amdhsa_user_sgpr_kernarg_preload_offset 0
		.amdhsa_user_sgpr_private_segment_size 0
		.amdhsa_uses_dynamic_stack 0
		.amdhsa_system_sgpr_private_segment_wavefront_offset 0
		.amdhsa_system_sgpr_workgroup_id_x 1
		.amdhsa_system_sgpr_workgroup_id_y 0
		.amdhsa_system_sgpr_workgroup_id_z 1
		.amdhsa_system_sgpr_workgroup_info 0
		.amdhsa_system_vgpr_workitem_id 0
		.amdhsa_next_free_vgpr 19
		.amdhsa_next_free_sgpr 38
		.amdhsa_accum_offset 20
		.amdhsa_reserve_vcc 1
		.amdhsa_reserve_flat_scratch 0
		.amdhsa_float_round_mode_32 0
		.amdhsa_float_round_mode_16_64 0
		.amdhsa_float_denorm_mode_32 3
		.amdhsa_float_denorm_mode_16_64 3
		.amdhsa_dx10_clamp 1
		.amdhsa_ieee_mode 1
		.amdhsa_fp16_overflow 0
		.amdhsa_tg_split 0
		.amdhsa_exception_fp_ieee_invalid_op 0
		.amdhsa_exception_fp_denorm_src 0
		.amdhsa_exception_fp_ieee_div_zero 0
		.amdhsa_exception_fp_ieee_overflow 0
		.amdhsa_exception_fp_ieee_underflow 0
		.amdhsa_exception_fp_ieee_inexact 0
		.amdhsa_exception_int_div_zero 0
	.end_amdhsa_kernel
	.section	.text._ZL20rocblas_tpmvn_kernelILi512EPK19rocblas_complex_numIfEPS1_S4_EvbbiT0_llT1_lllT2_li,"axG",@progbits,_ZL20rocblas_tpmvn_kernelILi512EPK19rocblas_complex_numIfEPS1_S4_EvbbiT0_llT1_lllT2_li,comdat
.Lfunc_end6:
	.size	_ZL20rocblas_tpmvn_kernelILi512EPK19rocblas_complex_numIfEPS1_S4_EvbbiT0_llT1_lllT2_li, .Lfunc_end6-_ZL20rocblas_tpmvn_kernelILi512EPK19rocblas_complex_numIfEPS1_S4_EvbbiT0_llT1_lllT2_li
                                        ; -- End function
	.section	.AMDGPU.csdata,"",@progbits
; Kernel info:
; codeLenInByte = 1140
; NumSgprs: 42
; NumVgprs: 19
; NumAgprs: 0
; TotalNumVgprs: 19
; ScratchSize: 0
; MemoryBound: 0
; FloatMode: 240
; IeeeMode: 1
; LDSByteSize: 0 bytes/workgroup (compile time only)
; SGPRBlocks: 5
; VGPRBlocks: 2
; NumSGPRsForWavesPerEU: 42
; NumVGPRsForWavesPerEU: 19
; AccumOffset: 20
; Occupancy: 8
; WaveLimiterHint : 0
; COMPUTE_PGM_RSRC2:SCRATCH_EN: 0
; COMPUTE_PGM_RSRC2:USER_SGPR: 6
; COMPUTE_PGM_RSRC2:TRAP_HANDLER: 0
; COMPUTE_PGM_RSRC2:TGID_X_EN: 1
; COMPUTE_PGM_RSRC2:TGID_Y_EN: 0
; COMPUTE_PGM_RSRC2:TGID_Z_EN: 1
; COMPUTE_PGM_RSRC2:TIDIG_COMP_CNT: 0
; COMPUTE_PGM_RSRC3_GFX90A:ACCUM_OFFSET: 4
; COMPUTE_PGM_RSRC3_GFX90A:TG_SPLIT: 0
	.section	.text._ZL20rocblas_tpmvt_kernelILi512EPK19rocblas_complex_numIfEPS1_S4_EvbbiT0_llT1_lllT2_li,"axG",@progbits,_ZL20rocblas_tpmvt_kernelILi512EPK19rocblas_complex_numIfEPS1_S4_EvbbiT0_llT1_lllT2_li,comdat
	.globl	_ZL20rocblas_tpmvt_kernelILi512EPK19rocblas_complex_numIfEPS1_S4_EvbbiT0_llT1_lllT2_li ; -- Begin function _ZL20rocblas_tpmvt_kernelILi512EPK19rocblas_complex_numIfEPS1_S4_EvbbiT0_llT1_lllT2_li
	.p2align	8
	.type	_ZL20rocblas_tpmvt_kernelILi512EPK19rocblas_complex_numIfEPS1_S4_EvbbiT0_llT1_lllT2_li,@function
_ZL20rocblas_tpmvt_kernelILi512EPK19rocblas_complex_numIfEPS1_S4_EvbbiT0_llT1_lllT2_li: ; @_ZL20rocblas_tpmvt_kernelILi512EPK19rocblas_complex_numIfEPS1_S4_EvbbiT0_llT1_lllT2_li
; %bb.0:
	s_load_dword s0, s[4:5], 0x64
	s_load_dwordx2 s[24:25], s[4:5], 0x0
	s_waitcnt lgkmcnt(0)
	s_and_b32 s0, s0, 0xffff
	s_mul_i32 s6, s6, s0
	v_add_u32_e32 v0, s6, v0
	v_cmp_gt_i32_e32 vcc, s25, v0
	s_and_saveexec_b64 s[0:1], vcc
	s_cbranch_execz .LBB7_18
; %bb.1:
	s_load_dword s0, s[4:5], 0x0
	s_load_dwordx16 s[8:23], s[4:5], 0x8
	v_ashrrev_i32_e32 v1, 31, v0
	s_waitcnt lgkmcnt(0)
	s_and_b32 s28, s0, 1
	s_mul_i32 s2, s7, s13
	s_mul_hi_u32 s3, s7, s12
	s_bitcmp1_b32 s24, 8
	s_cselect_b64 s[0:1], -1, 0
	s_add_i32 s3, s3, s2
	s_mul_i32 s2, s7, s12
	s_xor_b64 s[0:1], s[0:1], -1
	s_lshl_b64 s[12:13], s[2:3], 3
	s_add_u32 s2, s8, s12
	s_addc_u32 s3, s9, s13
	s_lshl_b64 s[26:27], s[10:11], 3
	s_add_u32 s6, s2, s26
	s_addc_u32 s24, s3, s27
	s_mul_i32 s2, s7, s21
	s_mul_hi_u32 s3, s7, s20
	s_add_i32 s3, s3, s2
	s_mul_i32 s2, s7, s20
	s_lshl_b64 s[2:3], s[2:3], 3
	s_add_u32 s20, s14, s2
	s_addc_u32 s21, s15, s3
	s_lshl_b64 s[10:11], s[16:17], 3
	v_mul_lo_u32 v4, v0, s19
	v_mul_lo_u32 v5, v1, s18
	v_mad_u64_u32 v[2:3], s[16:17], v0, s18, 0
	s_add_u32 s20, s20, s10
	v_add3_u32 v3, v3, v4, v5
	s_addc_u32 s21, s21, s11
	v_lshlrev_b64 v[2:3], 3, v[2:3]
	v_mov_b32_e32 v4, s21
	v_add_co_u32_e32 v2, vcc, s20, v2
	v_addc_co_u32_e32 v3, vcc, v4, v3, vcc
	global_load_dwordx2 v[4:5], v[2:3], off
	v_cndmask_b32_e64 v2, 0, 1, s[0:1]
	s_mov_b64 s[16:17], -1
	s_cmp_eq_u32 s28, 0
	v_cmp_ne_u32_e64 s[0:1], 1, v2
	s_cbranch_scc0 .LBB7_9
; %bb.2:
	s_and_b64 vcc, exec, s[0:1]
	s_waitcnt vmcnt(0)
	v_mov_b32_e32 v2, v4
	v_mov_b32_e32 v3, v5
	s_cbranch_vccnz .LBB7_4
; %bb.3:
	v_add_co_u32_e32 v6, vcc, -1, v0
	v_addc_co_u32_e32 v7, vcc, -1, v1, vcc
	v_mul_lo_u32 v8, v7, v0
	v_mul_lo_u32 v9, v6, v1
	v_mad_u64_u32 v[6:7], s[16:17], v6, v0, 0
	v_add3_u32 v7, v7, v9, v8
	v_mad_i64_i32 v[2:3], s[16:17], v0, s25, 0
	v_lshrrev_b64 v[6:7], 1, v[6:7]
	v_sub_co_u32_e32 v2, vcc, v2, v6
	v_subb_co_u32_e32 v3, vcc, v3, v7, vcc
	v_lshlrev_b64 v[2:3], 3, v[2:3]
	v_mov_b32_e32 v6, s24
	v_add_co_u32_e32 v2, vcc, s6, v2
	v_addc_co_u32_e32 v3, vcc, v6, v3, vcc
	global_load_dwordx2 v[6:7], v[2:3], off
	s_waitcnt vmcnt(0)
	v_mul_f32_e32 v2, v5, v7
	v_mul_f32_e32 v3, v4, v7
	v_fma_f32 v2, v4, v6, -v2
	v_fmac_f32_e32 v3, v5, v6
.LBB7_4:
	v_add_u32_e32 v6, 1, v0
	v_cmp_gt_i32_e32 vcc, s25, v6
	s_and_saveexec_b64 s[16:17], vcc
	s_cbranch_execz .LBB7_8
; %bb.5:
	v_add_co_u32_e32 v7, vcc, -1, v0
	v_addc_co_u32_e32 v8, vcc, -1, v1, vcc
	v_mul_lo_u32 v8, v8, v0
	v_mul_lo_u32 v9, v7, v1
	v_mad_u64_u32 v[10:11], s[20:21], v7, v0, 0
	s_ashr_i32 s29, s25, 31
	v_add3_u32 v11, v11, v9, v8
	v_mad_u64_u32 v[8:9], s[20:21], s18, v6, 0
	v_ashrrev_i32_e32 v7, 31, v6
	s_add_u32 s20, s14, s10
	v_mul_lo_u32 v12, s19, v6
	v_mul_lo_u32 v13, s18, v7
	s_addc_u32 s21, s15, s11
	v_add3_u32 v9, v9, v13, v12
	s_add_u32 s20, s20, s2
	s_mov_b32 s28, s25
	v_lshlrev_b64 v[8:9], 3, v[8:9]
	s_addc_u32 s21, s21, s3
	v_mov_b32_e32 v12, s21
	v_add_co_u32_e32 v8, vcc, s20, v8
	s_lshl_b64 s[20:21], s[18:19], 3
	s_lshl_b64 s[28:29], s[28:29], 3
	s_add_u32 s28, s28, -8
	s_addc_u32 s29, s29, -1
	s_add_u32 s12, s26, s12
	s_addc_u32 s13, s27, s13
	v_addc_co_u32_e32 v9, vcc, v12, v9, vcc
	v_pk_mov_b32 v[12:13], s[12:13], s[12:13] op_sel:[0,1]
	v_add_co_u32_e32 v8, vcc, 4, v8
	v_mad_u64_u32 v[12:13], s[12:13], s28, v0, v[12:13]
	v_mul_lo_u32 v14, s28, v1
	v_mul_lo_u32 v15, s29, v0
	v_addc_co_u32_e32 v9, vcc, 0, v9, vcc
	v_add3_u32 v13, v15, v13, v14
	v_lshlrev_b64 v[14:15], 3, v[6:7]
	v_add_co_u32_e32 v7, vcc, v12, v14
	v_lshlrev_b64 v[10:11], 2, v[10:11]
	v_addc_co_u32_e32 v12, vcc, v13, v15, vcc
	v_and_b32_e32 v10, -8, v10
	v_sub_co_u32_e32 v7, vcc, v7, v10
	v_subb_co_u32_e32 v11, vcc, v12, v11, vcc
	v_mov_b32_e32 v12, s9
	v_add_co_u32_e32 v10, vcc, s8, v7
	v_addc_co_u32_e32 v11, vcc, v12, v11, vcc
	s_mov_b64 s[8:9], 0
	v_mov_b32_e32 v7, s21
.LBB7_6:                                ; =>This Inner Loop Header: Depth=1
	global_load_dwordx2 v[12:13], v[10:11], off
	global_load_dwordx2 v[14:15], v[8:9], off offset:-4
	v_add_co_u32_e32 v8, vcc, s20, v8
	v_addc_co_u32_e32 v9, vcc, v9, v7, vcc
	v_add_co_u32_e32 v10, vcc, 8, v10
	v_add_u32_e32 v6, 1, v6
	v_addc_co_u32_e32 v11, vcc, 0, v11, vcc
	v_cmp_le_i32_e32 vcc, s25, v6
	s_or_b64 s[8:9], vcc, s[8:9]
	s_waitcnt vmcnt(0)
	v_mul_f32_e32 v16, v15, v13
	v_mul_f32_e32 v13, v14, v13
	v_fma_f32 v14, v14, v12, -v16
	v_fmac_f32_e32 v13, v15, v12
	v_add_f32_e32 v2, v2, v14
	v_add_f32_e32 v3, v3, v13
	s_andn2_b64 exec, exec, s[8:9]
	s_cbranch_execnz .LBB7_6
; %bb.7:
	s_or_b64 exec, exec, s[8:9]
.LBB7_8:
	s_or_b64 exec, exec, s[16:17]
	s_branch .LBB7_17
.LBB7_9:
                                        ; implicit-def: $vgpr3
	s_and_b64 vcc, exec, s[16:17]
	s_cbranch_vccz .LBB7_17
; %bb.10:
	s_and_b64 vcc, exec, s[0:1]
	v_add_u32_e32 v6, 1, v0
	s_cbranch_vccnz .LBB7_12
; %bb.11:
	v_mad_i64_i32 v[2:3], s[0:1], v6, v0, 0
	v_lshlrev_b64 v[2:3], 2, v[2:3]
	v_and_b32_e32 v2, -8, v2
	v_mov_b32_e32 v7, s24
	v_add_co_u32_e32 v8, vcc, s6, v2
	v_addc_co_u32_e32 v7, vcc, v7, v3, vcc
	v_lshlrev_b64 v[2:3], 3, v[0:1]
	v_add_co_u32_e32 v2, vcc, v8, v2
	v_addc_co_u32_e32 v3, vcc, v7, v3, vcc
	global_load_dwordx2 v[8:9], v[2:3], off
	s_waitcnt vmcnt(0)
	v_pk_mul_f32 v[10:11], v[4:5], v[8:9]
	v_mul_f32_e32 v3, v5, v8
	v_sub_f32_e32 v2, v10, v11
	v_fmac_f32_e32 v3, v4, v9
	v_cmp_lt_i32_e32 vcc, 0, v0
	s_and_saveexec_b64 s[0:1], vcc
	s_cbranch_execnz .LBB7_13
	s_branch .LBB7_16
.LBB7_12:
	s_waitcnt vmcnt(0)
	v_mov_b32_e32 v2, v4
	v_mov_b32_e32 v3, v5
	v_cmp_lt_i32_e32 vcc, 0, v0
	s_and_saveexec_b64 s[0:1], vcc
	s_cbranch_execz .LBB7_16
.LBB7_13:
	v_mad_u64_u32 v[4:5], s[8:9], v6, v0, 0
	v_mov_b32_e32 v8, v5
	v_mad_u64_u32 v[6:7], s[8:9], v6, v1, v[8:9]
	s_add_u32 s2, s2, s10
	v_mov_b32_e32 v5, v6
	s_addc_u32 s3, s3, s11
	v_lshlrev_b64 v[4:5], 2, v[4:5]
	s_add_u32 s2, s2, s14
	v_and_b32_e32 v4, -8, v4
	s_addc_u32 s3, s3, s15
	v_mov_b32_e32 v6, s24
	v_add_co_u32_e32 v4, vcc, s6, v4
	s_add_u32 s6, s2, 4
	v_addc_co_u32_e32 v5, vcc, v6, v5, vcc
	s_addc_u32 s10, s3, 0
	s_lshl_b64 s[8:9], s[18:19], 3
	s_mov_b64 s[2:3], 0
	v_mov_b32_e32 v6, v0
.LBB7_14:                               ; =>This Inner Loop Header: Depth=1
	global_load_dwordx2 v[8:9], v[4:5], off
	s_add_u32 s12, s6, -4
	s_addc_u32 s13, s10, -1
	s_load_dwordx2 s[12:13], s[12:13], 0x0
	v_add_co_u32_e32 v4, vcc, 8, v4
	v_add_u32_e32 v6, -1, v6
	v_addc_co_u32_e32 v5, vcc, 0, v5, vcc
	s_add_u32 s6, s6, s8
	v_cmp_eq_u32_e32 vcc, 0, v6
	s_addc_u32 s10, s10, s9
	s_or_b64 s[2:3], vcc, s[2:3]
	s_waitcnt vmcnt(0) lgkmcnt(0)
	v_mul_f32_e32 v7, s13, v9
	v_mul_f32_e32 v9, s12, v9
	v_fma_f32 v7, s12, v8, -v7
	v_fmac_f32_e32 v9, s13, v8
	v_add_f32_e32 v2, v2, v7
	v_add_f32_e32 v3, v3, v9
	s_andn2_b64 exec, exec, s[2:3]
	s_cbranch_execnz .LBB7_14
; %bb.15:
	s_or_b64 exec, exec, s[2:3]
.LBB7_16:
	s_or_b64 exec, exec, s[0:1]
.LBB7_17:
	s_load_dwordx2 s[0:1], s[4:5], 0x48
	v_lshlrev_b64 v[0:1], 3, v[0:1]
	s_waitcnt lgkmcnt(0)
	s_mul_i32 s1, s7, s1
	s_mul_hi_u32 s2, s7, s0
	s_mul_i32 s0, s7, s0
	s_add_i32 s1, s2, s1
	s_lshl_b64 s[0:1], s[0:1], 3
	s_add_u32 s0, s22, s0
	s_addc_u32 s1, s23, s1
	s_waitcnt vmcnt(0)
	v_mov_b32_e32 v4, s1
	v_add_co_u32_e32 v0, vcc, s0, v0
	v_addc_co_u32_e32 v1, vcc, v4, v1, vcc
	global_store_dwordx2 v[0:1], v[2:3], off
.LBB7_18:
	s_endpgm
	.section	.rodata,"a",@progbits
	.p2align	6, 0x0
	.amdhsa_kernel _ZL20rocblas_tpmvt_kernelILi512EPK19rocblas_complex_numIfEPS1_S4_EvbbiT0_llT1_lllT2_li
		.amdhsa_group_segment_fixed_size 0
		.amdhsa_private_segment_fixed_size 0
		.amdhsa_kernarg_size 344
		.amdhsa_user_sgpr_count 6
		.amdhsa_user_sgpr_private_segment_buffer 1
		.amdhsa_user_sgpr_dispatch_ptr 0
		.amdhsa_user_sgpr_queue_ptr 0
		.amdhsa_user_sgpr_kernarg_segment_ptr 1
		.amdhsa_user_sgpr_dispatch_id 0
		.amdhsa_user_sgpr_flat_scratch_init 0
		.amdhsa_user_sgpr_kernarg_preload_length 0
		.amdhsa_user_sgpr_kernarg_preload_offset 0
		.amdhsa_user_sgpr_private_segment_size 0
		.amdhsa_uses_dynamic_stack 0
		.amdhsa_system_sgpr_private_segment_wavefront_offset 0
		.amdhsa_system_sgpr_workgroup_id_x 1
		.amdhsa_system_sgpr_workgroup_id_y 0
		.amdhsa_system_sgpr_workgroup_id_z 1
		.amdhsa_system_sgpr_workgroup_info 0
		.amdhsa_system_vgpr_workitem_id 0
		.amdhsa_next_free_vgpr 17
		.amdhsa_next_free_sgpr 30
		.amdhsa_accum_offset 20
		.amdhsa_reserve_vcc 1
		.amdhsa_reserve_flat_scratch 0
		.amdhsa_float_round_mode_32 0
		.amdhsa_float_round_mode_16_64 0
		.amdhsa_float_denorm_mode_32 3
		.amdhsa_float_denorm_mode_16_64 3
		.amdhsa_dx10_clamp 1
		.amdhsa_ieee_mode 1
		.amdhsa_fp16_overflow 0
		.amdhsa_tg_split 0
		.amdhsa_exception_fp_ieee_invalid_op 0
		.amdhsa_exception_fp_denorm_src 0
		.amdhsa_exception_fp_ieee_div_zero 0
		.amdhsa_exception_fp_ieee_overflow 0
		.amdhsa_exception_fp_ieee_underflow 0
		.amdhsa_exception_fp_ieee_inexact 0
		.amdhsa_exception_int_div_zero 0
	.end_amdhsa_kernel
	.section	.text._ZL20rocblas_tpmvt_kernelILi512EPK19rocblas_complex_numIfEPS1_S4_EvbbiT0_llT1_lllT2_li,"axG",@progbits,_ZL20rocblas_tpmvt_kernelILi512EPK19rocblas_complex_numIfEPS1_S4_EvbbiT0_llT1_lllT2_li,comdat
.Lfunc_end7:
	.size	_ZL20rocblas_tpmvt_kernelILi512EPK19rocblas_complex_numIfEPS1_S4_EvbbiT0_llT1_lllT2_li, .Lfunc_end7-_ZL20rocblas_tpmvt_kernelILi512EPK19rocblas_complex_numIfEPS1_S4_EvbbiT0_llT1_lllT2_li
                                        ; -- End function
	.section	.AMDGPU.csdata,"",@progbits
; Kernel info:
; codeLenInByte = 1152
; NumSgprs: 34
; NumVgprs: 17
; NumAgprs: 0
; TotalNumVgprs: 17
; ScratchSize: 0
; MemoryBound: 0
; FloatMode: 240
; IeeeMode: 1
; LDSByteSize: 0 bytes/workgroup (compile time only)
; SGPRBlocks: 4
; VGPRBlocks: 2
; NumSGPRsForWavesPerEU: 34
; NumVGPRsForWavesPerEU: 17
; AccumOffset: 20
; Occupancy: 8
; WaveLimiterHint : 0
; COMPUTE_PGM_RSRC2:SCRATCH_EN: 0
; COMPUTE_PGM_RSRC2:USER_SGPR: 6
; COMPUTE_PGM_RSRC2:TRAP_HANDLER: 0
; COMPUTE_PGM_RSRC2:TGID_X_EN: 1
; COMPUTE_PGM_RSRC2:TGID_Y_EN: 0
; COMPUTE_PGM_RSRC2:TGID_Z_EN: 1
; COMPUTE_PGM_RSRC2:TIDIG_COMP_CNT: 0
; COMPUTE_PGM_RSRC3_GFX90A:ACCUM_OFFSET: 4
; COMPUTE_PGM_RSRC3_GFX90A:TG_SPLIT: 0
	.section	.text._ZL20rocblas_tpmvc_kernelILi512EPK19rocblas_complex_numIfEPS1_S4_EvbbiT0_llT1_lllT2_li,"axG",@progbits,_ZL20rocblas_tpmvc_kernelILi512EPK19rocblas_complex_numIfEPS1_S4_EvbbiT0_llT1_lllT2_li,comdat
	.globl	_ZL20rocblas_tpmvc_kernelILi512EPK19rocblas_complex_numIfEPS1_S4_EvbbiT0_llT1_lllT2_li ; -- Begin function _ZL20rocblas_tpmvc_kernelILi512EPK19rocblas_complex_numIfEPS1_S4_EvbbiT0_llT1_lllT2_li
	.p2align	8
	.type	_ZL20rocblas_tpmvc_kernelILi512EPK19rocblas_complex_numIfEPS1_S4_EvbbiT0_llT1_lllT2_li,@function
_ZL20rocblas_tpmvc_kernelILi512EPK19rocblas_complex_numIfEPS1_S4_EvbbiT0_llT1_lllT2_li: ; @_ZL20rocblas_tpmvc_kernelILi512EPK19rocblas_complex_numIfEPS1_S4_EvbbiT0_llT1_lllT2_li
; %bb.0:
	s_load_dword s0, s[4:5], 0x64
	s_load_dwordx2 s[24:25], s[4:5], 0x0
	s_waitcnt lgkmcnt(0)
	s_and_b32 s0, s0, 0xffff
	s_mul_i32 s6, s6, s0
	v_add_u32_e32 v0, s6, v0
	v_cmp_gt_i32_e32 vcc, s25, v0
	s_and_saveexec_b64 s[0:1], vcc
	s_cbranch_execz .LBB8_18
; %bb.1:
	s_load_dword s0, s[4:5], 0x0
	s_load_dwordx16 s[8:23], s[4:5], 0x8
	v_ashrrev_i32_e32 v1, 31, v0
	s_waitcnt lgkmcnt(0)
	s_and_b32 s28, s0, 1
	s_mul_i32 s2, s7, s13
	s_mul_hi_u32 s3, s7, s12
	s_bitcmp1_b32 s24, 8
	s_cselect_b64 s[0:1], -1, 0
	s_add_i32 s3, s3, s2
	s_mul_i32 s2, s7, s12
	s_xor_b64 s[0:1], s[0:1], -1
	s_lshl_b64 s[12:13], s[2:3], 3
	s_add_u32 s2, s8, s12
	s_addc_u32 s3, s9, s13
	s_lshl_b64 s[10:11], s[10:11], 3
	s_add_u32 s6, s2, s10
	s_addc_u32 s24, s3, s11
	s_mul_i32 s2, s7, s21
	s_mul_hi_u32 s3, s7, s20
	s_add_i32 s3, s3, s2
	s_mul_i32 s2, s7, s20
	s_lshl_b64 s[20:21], s[2:3], 3
	s_add_u32 s2, s14, s20
	s_addc_u32 s3, s15, s21
	s_lshl_b64 s[26:27], s[16:17], 3
	v_mul_lo_u32 v4, v0, s19
	v_mul_lo_u32 v5, v1, s18
	v_mad_u64_u32 v[2:3], s[16:17], v0, s18, 0
	s_add_u32 s2, s2, s26
	v_add3_u32 v3, v3, v4, v5
	s_addc_u32 s3, s3, s27
	v_lshlrev_b64 v[2:3], 3, v[2:3]
	v_mov_b32_e32 v4, s3
	v_add_co_u32_e32 v2, vcc, s2, v2
	v_addc_co_u32_e32 v3, vcc, v4, v3, vcc
	global_load_dwordx2 v[4:5], v[2:3], off
	v_cndmask_b32_e64 v2, 0, 1, s[0:1]
	s_mov_b64 s[16:17], -1
	s_cmp_eq_u32 s28, 0
	v_cmp_ne_u32_e64 s[0:1], 1, v2
	s_cbranch_scc0 .LBB8_9
; %bb.2:
	s_and_b64 vcc, exec, s[0:1]
	s_waitcnt vmcnt(0)
	v_mov_b32_e32 v2, v4
	v_mov_b32_e32 v3, v5
	s_cbranch_vccnz .LBB8_4
; %bb.3:
	v_add_co_u32_e32 v6, vcc, -1, v0
	v_addc_co_u32_e32 v7, vcc, -1, v1, vcc
	v_mul_lo_u32 v8, v7, v0
	v_mul_lo_u32 v9, v6, v1
	v_mad_u64_u32 v[6:7], s[16:17], v6, v0, 0
	v_add3_u32 v7, v7, v9, v8
	v_mad_i64_i32 v[2:3], s[16:17], v0, s25, 0
	v_lshrrev_b64 v[6:7], 1, v[6:7]
	v_sub_co_u32_e32 v2, vcc, v2, v6
	v_subb_co_u32_e32 v3, vcc, v3, v7, vcc
	v_lshlrev_b64 v[2:3], 3, v[2:3]
	v_mov_b32_e32 v6, s24
	v_add_co_u32_e32 v2, vcc, s6, v2
	v_addc_co_u32_e32 v3, vcc, v6, v3, vcc
	global_load_dwordx2 v[6:7], v[2:3], off
	s_waitcnt vmcnt(0)
	v_mul_f32_e32 v2, v5, v7
	v_mul_f32_e32 v3, v4, v7
	v_fmac_f32_e32 v2, v4, v6
	v_fma_f32 v3, v5, v6, -v3
.LBB8_4:
	v_add_u32_e32 v6, 1, v0
	v_cmp_gt_i32_e32 vcc, s25, v6
	s_and_saveexec_b64 s[16:17], vcc
	s_cbranch_execz .LBB8_8
; %bb.5:
	v_add_co_u32_e32 v7, vcc, -1, v0
	s_ashr_i32 s29, s25, 31
	v_addc_co_u32_e32 v8, vcc, -1, v1, vcc
	v_mul_lo_u32 v8, v8, v0
	v_mul_lo_u32 v9, v7, v1
	v_mad_u64_u32 v[10:11], s[30:31], v7, v0, 0
	v_ashrrev_i32_e32 v7, 31, v6
	s_add_u32 s14, s14, s26
	v_add3_u32 v11, v11, v9, v8
	v_mul_lo_u32 v12, s19, v6
	v_mul_lo_u32 v13, s18, v7
	v_mad_u64_u32 v[8:9], s[30:31], s18, v6, 0
	s_addc_u32 s15, s15, s27
	v_add3_u32 v9, v9, v13, v12
	s_add_u32 s14, s14, s20
	s_mov_b32 s28, s25
	v_lshlrev_b64 v[8:9], 3, v[8:9]
	s_addc_u32 s15, s15, s21
	v_mov_b32_e32 v12, s15
	v_add_co_u32_e32 v8, vcc, s14, v8
	s_lshl_b64 s[14:15], s[18:19], 3
	s_lshl_b64 s[20:21], s[28:29], 3
	s_add_u32 s20, s20, -8
	s_addc_u32 s21, s21, -1
	s_add_u32 s10, s10, s12
	s_addc_u32 s11, s11, s13
	v_addc_co_u32_e32 v9, vcc, v12, v9, vcc
	v_pk_mov_b32 v[12:13], s[10:11], s[10:11] op_sel:[0,1]
	v_mad_u64_u32 v[12:13], s[10:11], s20, v0, v[12:13]
	v_mul_lo_u32 v14, s20, v1
	v_mul_lo_u32 v15, s21, v0
	v_add3_u32 v13, v15, v13, v14
	v_lshlrev_b64 v[14:15], 3, v[6:7]
	v_add_co_u32_e32 v7, vcc, v12, v14
	v_lshlrev_b64 v[10:11], 2, v[10:11]
	v_addc_co_u32_e32 v12, vcc, v13, v15, vcc
	v_and_b32_e32 v10, -8, v10
	v_sub_co_u32_e32 v7, vcc, v7, v10
	v_subb_co_u32_e32 v11, vcc, v12, v11, vcc
	v_mov_b32_e32 v12, s9
	v_add_co_u32_e32 v10, vcc, s8, v7
	v_addc_co_u32_e32 v11, vcc, v12, v11, vcc
	s_mov_b64 s[8:9], 0
	v_mov_b32_e32 v7, s15
.LBB8_6:                                ; =>This Inner Loop Header: Depth=1
	global_load_dwordx2 v[12:13], v[10:11], off
	global_load_dwordx2 v[14:15], v[8:9], off
	v_add_co_u32_e32 v8, vcc, s14, v8
	v_addc_co_u32_e32 v9, vcc, v9, v7, vcc
	v_add_co_u32_e32 v10, vcc, 8, v10
	v_add_u32_e32 v6, 1, v6
	v_addc_co_u32_e32 v11, vcc, 0, v11, vcc
	v_cmp_le_i32_e32 vcc, s25, v6
	s_or_b64 s[8:9], vcc, s[8:9]
	s_waitcnt vmcnt(0)
	v_pk_mul_f32 v[16:17], v[12:13], v[14:15]
	v_mul_f32_e32 v12, v12, v15
	v_add_f32_e32 v15, v16, v17
	v_fma_f32 v12, -v13, v14, v12
	v_add_f32_e32 v2, v2, v15
	v_add_f32_e32 v3, v3, v12
	s_andn2_b64 exec, exec, s[8:9]
	s_cbranch_execnz .LBB8_6
; %bb.7:
	s_or_b64 exec, exec, s[8:9]
.LBB8_8:
	s_or_b64 exec, exec, s[16:17]
	s_branch .LBB8_17
.LBB8_9:
                                        ; implicit-def: $vgpr3
	s_and_b64 vcc, exec, s[16:17]
	s_cbranch_vccz .LBB8_17
; %bb.10:
	s_and_b64 vcc, exec, s[0:1]
	v_add_u32_e32 v6, 1, v0
	s_cbranch_vccnz .LBB8_12
; %bb.11:
	v_mad_i64_i32 v[2:3], s[0:1], v6, v0, 0
	v_lshlrev_b64 v[2:3], 2, v[2:3]
	v_and_b32_e32 v2, -8, v2
	v_mov_b32_e32 v7, s24
	v_add_co_u32_e32 v8, vcc, s6, v2
	v_addc_co_u32_e32 v7, vcc, v7, v3, vcc
	v_lshlrev_b64 v[2:3], 3, v[0:1]
	v_add_co_u32_e32 v2, vcc, v8, v2
	v_addc_co_u32_e32 v3, vcc, v7, v3, vcc
	global_load_dwordx2 v[2:3], v[2:3], off
	s_waitcnt vmcnt(0)
	v_pk_mul_f32 v[8:9], v[4:5], v[2:3]
	v_mul_f32_e32 v5, v5, v2
	v_add_f32_e32 v2, v8, v9
	v_fma_f32 v3, -v4, v3, v5
	v_cmp_lt_i32_e32 vcc, 0, v0
	s_and_saveexec_b64 s[0:1], vcc
	s_cbranch_execnz .LBB8_13
	s_branch .LBB8_16
.LBB8_12:
	s_waitcnt vmcnt(0)
	v_mov_b32_e32 v2, v4
	v_mov_b32_e32 v3, v5
	v_cmp_lt_i32_e32 vcc, 0, v0
	s_and_saveexec_b64 s[0:1], vcc
	s_cbranch_execz .LBB8_16
.LBB8_13:
	v_mad_u64_u32 v[4:5], s[8:9], v6, v0, 0
	v_mov_b32_e32 v8, v5
	v_mad_u64_u32 v[6:7], s[8:9], v6, v1, v[8:9]
	v_mov_b32_e32 v5, v6
	v_lshlrev_b64 v[4:5], 2, v[4:5]
	v_and_b32_e32 v4, -8, v4
	v_mov_b32_e32 v6, s24
	v_add_co_u32_e32 v4, vcc, s6, v4
	v_addc_co_u32_e32 v5, vcc, v6, v5, vcc
	s_lshl_b64 s[10:11], s[18:19], 3
	s_mov_b64 s[8:9], 0
	v_mov_b32_e32 v6, v0
.LBB8_14:                               ; =>This Inner Loop Header: Depth=1
	global_load_dwordx2 v[8:9], v[4:5], off
	s_load_dwordx2 s[12:13], s[2:3], 0x0
	v_add_co_u32_e32 v4, vcc, 8, v4
	v_add_u32_e32 v6, -1, v6
	v_addc_co_u32_e32 v5, vcc, 0, v5, vcc
	s_add_u32 s2, s2, s10
	s_addc_u32 s3, s3, s11
	v_cmp_eq_u32_e32 vcc, 0, v6
	s_or_b64 s[8:9], vcc, s[8:9]
	s_waitcnt vmcnt(0) lgkmcnt(0)
	v_pk_mul_f32 v[10:11], v[8:9], s[12:13]
	v_mul_f32_e32 v7, s13, v8
	v_add_f32_e32 v8, v10, v11
	v_fma_f32 v7, -v9, s12, v7
	v_add_f32_e32 v2, v2, v8
	v_add_f32_e32 v3, v3, v7
	s_andn2_b64 exec, exec, s[8:9]
	s_cbranch_execnz .LBB8_14
; %bb.15:
	s_or_b64 exec, exec, s[8:9]
.LBB8_16:
	s_or_b64 exec, exec, s[0:1]
.LBB8_17:
	s_load_dwordx2 s[0:1], s[4:5], 0x48
	v_lshlrev_b64 v[0:1], 3, v[0:1]
	s_waitcnt lgkmcnt(0)
	s_mul_i32 s1, s7, s1
	s_mul_hi_u32 s2, s7, s0
	s_mul_i32 s0, s7, s0
	s_add_i32 s1, s2, s1
	s_lshl_b64 s[0:1], s[0:1], 3
	s_add_u32 s0, s22, s0
	s_addc_u32 s1, s23, s1
	s_waitcnt vmcnt(0)
	v_mov_b32_e32 v4, s1
	v_add_co_u32_e32 v0, vcc, s0, v0
	v_addc_co_u32_e32 v1, vcc, v4, v1, vcc
	global_store_dwordx2 v[0:1], v[2:3], off
.LBB8_18:
	s_endpgm
	.section	.rodata,"a",@progbits
	.p2align	6, 0x0
	.amdhsa_kernel _ZL20rocblas_tpmvc_kernelILi512EPK19rocblas_complex_numIfEPS1_S4_EvbbiT0_llT1_lllT2_li
		.amdhsa_group_segment_fixed_size 0
		.amdhsa_private_segment_fixed_size 0
		.amdhsa_kernarg_size 344
		.amdhsa_user_sgpr_count 6
		.amdhsa_user_sgpr_private_segment_buffer 1
		.amdhsa_user_sgpr_dispatch_ptr 0
		.amdhsa_user_sgpr_queue_ptr 0
		.amdhsa_user_sgpr_kernarg_segment_ptr 1
		.amdhsa_user_sgpr_dispatch_id 0
		.amdhsa_user_sgpr_flat_scratch_init 0
		.amdhsa_user_sgpr_kernarg_preload_length 0
		.amdhsa_user_sgpr_kernarg_preload_offset 0
		.amdhsa_user_sgpr_private_segment_size 0
		.amdhsa_uses_dynamic_stack 0
		.amdhsa_system_sgpr_private_segment_wavefront_offset 0
		.amdhsa_system_sgpr_workgroup_id_x 1
		.amdhsa_system_sgpr_workgroup_id_y 0
		.amdhsa_system_sgpr_workgroup_id_z 1
		.amdhsa_system_sgpr_workgroup_info 0
		.amdhsa_system_vgpr_workitem_id 0
		.amdhsa_next_free_vgpr 18
		.amdhsa_next_free_sgpr 32
		.amdhsa_accum_offset 20
		.amdhsa_reserve_vcc 1
		.amdhsa_reserve_flat_scratch 0
		.amdhsa_float_round_mode_32 0
		.amdhsa_float_round_mode_16_64 0
		.amdhsa_float_denorm_mode_32 3
		.amdhsa_float_denorm_mode_16_64 3
		.amdhsa_dx10_clamp 1
		.amdhsa_ieee_mode 1
		.amdhsa_fp16_overflow 0
		.amdhsa_tg_split 0
		.amdhsa_exception_fp_ieee_invalid_op 0
		.amdhsa_exception_fp_denorm_src 0
		.amdhsa_exception_fp_ieee_div_zero 0
		.amdhsa_exception_fp_ieee_overflow 0
		.amdhsa_exception_fp_ieee_underflow 0
		.amdhsa_exception_fp_ieee_inexact 0
		.amdhsa_exception_int_div_zero 0
	.end_amdhsa_kernel
	.section	.text._ZL20rocblas_tpmvc_kernelILi512EPK19rocblas_complex_numIfEPS1_S4_EvbbiT0_llT1_lllT2_li,"axG",@progbits,_ZL20rocblas_tpmvc_kernelILi512EPK19rocblas_complex_numIfEPS1_S4_EvbbiT0_llT1_lllT2_li,comdat
.Lfunc_end8:
	.size	_ZL20rocblas_tpmvc_kernelILi512EPK19rocblas_complex_numIfEPS1_S4_EvbbiT0_llT1_lllT2_li, .Lfunc_end8-_ZL20rocblas_tpmvc_kernelILi512EPK19rocblas_complex_numIfEPS1_S4_EvbbiT0_llT1_lllT2_li
                                        ; -- End function
	.section	.AMDGPU.csdata,"",@progbits
; Kernel info:
; codeLenInByte = 1124
; NumSgprs: 36
; NumVgprs: 18
; NumAgprs: 0
; TotalNumVgprs: 18
; ScratchSize: 0
; MemoryBound: 0
; FloatMode: 240
; IeeeMode: 1
; LDSByteSize: 0 bytes/workgroup (compile time only)
; SGPRBlocks: 4
; VGPRBlocks: 2
; NumSGPRsForWavesPerEU: 36
; NumVGPRsForWavesPerEU: 18
; AccumOffset: 20
; Occupancy: 8
; WaveLimiterHint : 0
; COMPUTE_PGM_RSRC2:SCRATCH_EN: 0
; COMPUTE_PGM_RSRC2:USER_SGPR: 6
; COMPUTE_PGM_RSRC2:TRAP_HANDLER: 0
; COMPUTE_PGM_RSRC2:TGID_X_EN: 1
; COMPUTE_PGM_RSRC2:TGID_Y_EN: 0
; COMPUTE_PGM_RSRC2:TGID_Z_EN: 1
; COMPUTE_PGM_RSRC2:TIDIG_COMP_CNT: 0
; COMPUTE_PGM_RSRC3_GFX90A:ACCUM_OFFSET: 4
; COMPUTE_PGM_RSRC3_GFX90A:TG_SPLIT: 0
	.section	.text._ZL20rocblas_tpmvn_kernelILi512EPK19rocblas_complex_numIdEPS1_S4_EvbbiT0_llT1_lllT2_li,"axG",@progbits,_ZL20rocblas_tpmvn_kernelILi512EPK19rocblas_complex_numIdEPS1_S4_EvbbiT0_llT1_lllT2_li,comdat
	.globl	_ZL20rocblas_tpmvn_kernelILi512EPK19rocblas_complex_numIdEPS1_S4_EvbbiT0_llT1_lllT2_li ; -- Begin function _ZL20rocblas_tpmvn_kernelILi512EPK19rocblas_complex_numIdEPS1_S4_EvbbiT0_llT1_lllT2_li
	.p2align	8
	.type	_ZL20rocblas_tpmvn_kernelILi512EPK19rocblas_complex_numIdEPS1_S4_EvbbiT0_llT1_lllT2_li,@function
_ZL20rocblas_tpmvn_kernelILi512EPK19rocblas_complex_numIdEPS1_S4_EvbbiT0_llT1_lllT2_li: ; @_ZL20rocblas_tpmvn_kernelILi512EPK19rocblas_complex_numIdEPS1_S4_EvbbiT0_llT1_lllT2_li
; %bb.0:
	s_load_dword s0, s[4:5], 0x64
	s_load_dwordx2 s[2:3], s[4:5], 0x0
	s_waitcnt lgkmcnt(0)
	s_and_b32 s0, s0, 0xffff
	s_mul_i32 s6, s6, s0
	v_add_u32_e32 v8, s6, v0
	v_cmp_gt_i32_e32 vcc, s3, v8
	s_and_saveexec_b64 s[0:1], vcc
	s_cbranch_execz .LBB9_18
; %bb.1:
	s_load_dword s0, s[4:5], 0x0
	s_load_dwordx16 s[8:23], s[4:5], 0x8
	v_ashrrev_i32_e32 v9, 31, v8
	s_waitcnt lgkmcnt(0)
	s_and_b32 s28, s0, 1
	s_mul_i32 s6, s7, s13
	s_mul_hi_u32 s13, s7, s12
	s_bitcmp1_b32 s2, 8
	s_cselect_b64 s[0:1], -1, 0
	s_add_i32 s13, s13, s6
	s_mul_i32 s12, s7, s12
	s_xor_b64 s[0:1], s[0:1], -1
	s_lshl_b64 s[24:25], s[12:13], 4
	s_add_u32 s2, s8, s24
	s_addc_u32 s6, s9, s25
	s_lshl_b64 s[26:27], s[10:11], 4
	s_add_u32 s2, s2, s26
	s_mul_i32 s10, s7, s21
	s_mul_hi_u32 s11, s7, s20
	s_addc_u32 s6, s6, s27
	s_add_i32 s11, s11, s10
	s_mul_i32 s10, s7, s20
	s_lshl_b64 s[10:11], s[10:11], 4
	s_add_u32 s20, s14, s10
	s_addc_u32 s21, s15, s11
	s_lshl_b64 s[12:13], s[16:17], 4
	v_mul_lo_u32 v2, v8, s19
	v_mul_lo_u32 v3, v9, s18
	v_mad_u64_u32 v[0:1], s[16:17], v8, s18, 0
	s_add_u32 s20, s20, s12
	v_add3_u32 v1, v1, v2, v3
	s_addc_u32 s21, s21, s13
	v_lshlrev_b64 v[0:1], 4, v[0:1]
	v_mov_b32_e32 v2, s21
	v_add_co_u32_e32 v0, vcc, s20, v0
	v_addc_co_u32_e32 v1, vcc, v2, v1, vcc
	global_load_dwordx4 v[0:3], v[0:1], off
	v_cndmask_b32_e64 v4, 0, 1, s[0:1]
	s_mov_b64 s[16:17], -1
	s_cmp_eq_u32 s28, 0
	v_cmp_ne_u32_e64 s[0:1], 1, v4
	s_cbranch_scc0 .LBB9_9
; %bb.2:
	s_and_b64 vcc, exec, s[0:1]
	s_waitcnt vmcnt(0)
	v_pk_mov_b32 v[4:5], v[0:1], v[0:1] op_sel:[0,1]
	v_pk_mov_b32 v[6:7], v[2:3], v[2:3] op_sel:[0,1]
	s_cbranch_vccnz .LBB9_4
; %bb.3:
	v_add_co_u32_e32 v6, vcc, -1, v8
	v_addc_co_u32_e32 v7, vcc, -1, v9, vcc
	v_mul_lo_u32 v10, v7, v8
	v_mul_lo_u32 v11, v6, v9
	v_mad_u64_u32 v[6:7], s[16:17], v6, v8, 0
	v_add3_u32 v7, v7, v11, v10
	v_mad_i64_i32 v[4:5], s[16:17], v8, s3, 0
	v_lshrrev_b64 v[6:7], 1, v[6:7]
	v_sub_co_u32_e32 v4, vcc, v4, v6
	v_subb_co_u32_e32 v5, vcc, v5, v7, vcc
	v_lshlrev_b64 v[4:5], 4, v[4:5]
	v_mov_b32_e32 v6, s6
	v_add_co_u32_e32 v4, vcc, s2, v4
	v_addc_co_u32_e32 v5, vcc, v6, v5, vcc
	global_load_dwordx4 v[10:13], v[4:5], off
	s_waitcnt vmcnt(0)
	v_mul_f64 v[4:5], v[2:3], v[12:13]
	v_mul_f64 v[6:7], v[0:1], v[12:13]
	v_fma_f64 v[4:5], v[0:1], v[10:11], -v[4:5]
	v_fmac_f64_e32 v[6:7], v[2:3], v[10:11]
.LBB9_4:
	v_cmp_lt_i32_e32 vcc, 0, v8
	s_and_saveexec_b64 s[16:17], vcc
	s_cbranch_execz .LBB9_8
; %bb.5:
	s_ashr_i32 s21, s3, 31
	s_add_u32 s24, s24, s26
	s_addc_u32 s25, s25, s27
	s_add_u32 s8, s8, s24
	s_mov_b32 s20, s3
	v_lshlrev_b64 v[10:11], 4, v[8:9]
	s_addc_u32 s9, s9, s25
	v_mov_b32_e32 v12, s9
	v_add_co_u32_e32 v10, vcc, s8, v10
	s_lshl_b64 s[8:9], s[20:21], 4
	s_add_u32 s30, s8, -16
	s_addc_u32 s24, s9, -1
	s_add_u32 s8, s10, s12
	s_addc_u32 s9, s11, s13
	s_add_u32 s8, s8, s14
	v_addc_co_u32_e32 v11, vcc, v12, v11, vcc
	s_addc_u32 s9, s9, s15
	v_add_co_u32_e32 v10, vcc, 8, v10
	s_add_u32 s31, s8, 8
	v_addc_co_u32_e32 v11, vcc, 0, v11, vcc
	s_addc_u32 s33, s9, 0
	s_lshl_b64 s[20:21], s[18:19], 4
	s_mov_b64 s[8:9], 0
	v_mov_b32_e32 v12, s24
	s_mov_b64 s[24:25], 0
	s_mov_b64 s[28:29], 0
	;; [unrolled: 1-line block ×3, first 2 shown]
.LBB9_6:                                ; =>This Inner Loop Header: Depth=1
	s_lshl_b64 s[34:35], s[24:25], 3
	s_and_b32 s34, s34, -16
	v_mov_b32_e32 v13, s35
	v_subrev_co_u32_e32 v14, vcc, s34, v10
	v_subb_co_u32_e32 v15, vcc, v11, v13, vcc
	global_load_dwordx4 v[14:17], v[14:15], off offset:-8
	s_add_u32 s34, s31, -8
	s_addc_u32 s35, s33, -1
	s_add_u32 s26, s26, 1
	s_load_dwordx4 s[36:39], s[34:35], 0x0
	s_addc_u32 s27, s27, 0
	s_add_u32 s34, s28, 2
	s_addc_u32 s35, s29, 0
	s_add_u32 s24, s24, s28
	v_add_co_u32_e32 v10, vcc, s30, v10
	s_addc_u32 s25, s25, s29
	v_addc_co_u32_e32 v11, vcc, v11, v12, vcc
	s_add_u32 s31, s31, s20
	v_cmp_eq_u32_e32 vcc, s26, v8
	s_addc_u32 s33, s33, s21
	s_mov_b64 s[28:29], s[34:35]
	s_or_b64 s[8:9], vcc, s[8:9]
	s_waitcnt vmcnt(0) lgkmcnt(0)
	v_mul_f64 v[18:19], s[38:39], v[16:17]
	v_mul_f64 v[16:17], s[36:37], v[16:17]
	v_fma_f64 v[18:19], s[36:37], v[14:15], -v[18:19]
	v_fmac_f64_e32 v[16:17], s[38:39], v[14:15]
	v_add_f64 v[4:5], v[4:5], v[18:19]
	v_add_f64 v[6:7], v[6:7], v[16:17]
	s_andn2_b64 exec, exec, s[8:9]
	s_cbranch_execnz .LBB9_6
; %bb.7:
	s_or_b64 exec, exec, s[8:9]
.LBB9_8:
	s_or_b64 exec, exec, s[16:17]
	s_branch .LBB9_17
.LBB9_9:
                                        ; implicit-def: $vgpr6_vgpr7
	s_and_b64 vcc, exec, s[16:17]
	s_cbranch_vccz .LBB9_17
; %bb.10:
	s_and_b64 vcc, exec, s[0:1]
	v_add_u32_e32 v4, 1, v8
	s_cbranch_vccnz .LBB9_12
; %bb.11:
	v_mad_i64_i32 v[6:7], s[0:1], v4, v8, 0
	v_lshlrev_b64 v[6:7], 3, v[6:7]
	v_and_b32_e32 v5, -16, v6
	v_mov_b32_e32 v6, s6
	v_add_co_u32_e32 v5, vcc, s2, v5
	v_addc_co_u32_e32 v10, vcc, v6, v7, vcc
	v_lshlrev_b64 v[6:7], 4, v[8:9]
	v_add_co_u32_e32 v6, vcc, v5, v6
	v_addc_co_u32_e32 v7, vcc, v10, v7, vcc
	global_load_dwordx4 v[10:13], v[6:7], off
	s_waitcnt vmcnt(0)
	v_mul_f64 v[6:7], v[2:3], v[12:13]
	v_mul_f64 v[12:13], v[0:1], v[12:13]
	v_fmac_f64_e32 v[12:13], v[2:3], v[10:11]
	v_fma_f64 v[0:1], v[0:1], v[10:11], -v[6:7]
	v_pk_mov_b32 v[2:3], v[12:13], v[12:13] op_sel:[0,1]
.LBB9_12:
	v_cmp_gt_i32_e32 vcc, s3, v4
	s_and_saveexec_b64 s[0:1], vcc
	s_cbranch_execz .LBB9_16
; %bb.13:
	v_lshlrev_b64 v[6:7], 4, v[8:9]
	v_mov_b32_e32 v5, s6
	v_add_co_u32_e32 v12, vcc, s2, v6
	v_addc_co_u32_e32 v13, vcc, v5, v7, vcc
	v_ashrrev_i32_e32 v5, 31, v4
	s_add_u32 s2, s14, s12
	v_mul_lo_u32 v14, s19, v4
	v_mul_lo_u32 v15, s18, v5
	v_mad_u64_u32 v[10:11], s[8:9], s18, v4, 0
	s_addc_u32 s6, s15, s13
	v_add3_u32 v11, v11, v15, v14
	s_add_u32 s2, s2, s10
	v_lshlrev_b64 v[10:11], 4, v[10:11]
	s_addc_u32 s6, s6, s11
	v_mov_b32_e32 v14, s6
	v_add_co_u32_e32 v10, vcc, s2, v10
	v_addc_co_u32_e32 v11, vcc, v14, v11, vcc
	v_add_u32_e32 v6, 2, v8
	v_add_co_u32_e32 v10, vcc, 8, v10
	s_lshl_b64 s[10:11], s[18:19], 4
	v_ashrrev_i32_e32 v7, 31, v6
	v_addc_co_u32_e32 v11, vcc, 0, v11, vcc
	s_mov_b64 s[8:9], 0
	v_mov_b32_e32 v14, s11
.LBB9_14:                               ; =>This Inner Loop Header: Depth=1
	v_mul_lo_u32 v15, v7, v4
	v_mul_lo_u32 v22, v6, v5
	v_mad_u64_u32 v[20:21], s[12:13], v6, v4, 0
	v_add3_u32 v21, v21, v22, v15
	v_lshlrev_b64 v[20:21], 3, v[20:21]
	v_and_b32_e32 v15, -16, v20
	v_add_co_u32_e32 v20, vcc, v12, v15
	v_addc_co_u32_e32 v21, vcc, v13, v21, vcc
	global_load_dwordx4 v[16:19], v[10:11], off offset:-8
	v_add_co_u32_e32 v4, vcc, 1, v4
	global_load_dwordx4 v[20:23], v[20:21], off
	v_addc_co_u32_e32 v5, vcc, 0, v5, vcc
	v_add_co_u32_e32 v6, vcc, 1, v6
	v_addc_co_u32_e32 v7, vcc, 0, v7, vcc
	v_add_co_u32_e32 v10, vcc, s10, v10
	v_addc_co_u32_e32 v11, vcc, v11, v14, vcc
	v_cmp_le_i32_e32 vcc, s3, v4
	s_or_b64 s[8:9], vcc, s[8:9]
	s_waitcnt vmcnt(0)
	v_mul_f64 v[24:25], v[18:19], v[22:23]
	v_mul_f64 v[22:23], v[16:17], v[22:23]
	v_fma_f64 v[16:17], v[16:17], v[20:21], -v[24:25]
	v_fmac_f64_e32 v[22:23], v[18:19], v[20:21]
	v_add_f64 v[0:1], v[0:1], v[16:17]
	v_add_f64 v[2:3], v[2:3], v[22:23]
	s_andn2_b64 exec, exec, s[8:9]
	s_cbranch_execnz .LBB9_14
; %bb.15:
	s_or_b64 exec, exec, s[8:9]
.LBB9_16:
	s_or_b64 exec, exec, s[0:1]
	s_waitcnt vmcnt(0)
	v_pk_mov_b32 v[6:7], v[2:3], v[2:3] op_sel:[0,1]
	v_pk_mov_b32 v[4:5], v[0:1], v[0:1] op_sel:[0,1]
.LBB9_17:
	s_load_dwordx2 s[0:1], s[4:5], 0x48
	s_waitcnt vmcnt(0)
	v_lshlrev_b64 v[0:1], 4, v[8:9]
	s_waitcnt lgkmcnt(0)
	s_mul_i32 s1, s7, s1
	s_mul_hi_u32 s2, s7, s0
	s_mul_i32 s0, s7, s0
	s_add_i32 s1, s2, s1
	s_lshl_b64 s[0:1], s[0:1], 4
	s_add_u32 s0, s22, s0
	s_addc_u32 s1, s23, s1
	v_mov_b32_e32 v2, s1
	v_add_co_u32_e32 v0, vcc, s0, v0
	v_addc_co_u32_e32 v1, vcc, v2, v1, vcc
	global_store_dwordx4 v[0:1], v[4:7], off
.LBB9_18:
	s_endpgm
	.section	.rodata,"a",@progbits
	.p2align	6, 0x0
	.amdhsa_kernel _ZL20rocblas_tpmvn_kernelILi512EPK19rocblas_complex_numIdEPS1_S4_EvbbiT0_llT1_lllT2_li
		.amdhsa_group_segment_fixed_size 0
		.amdhsa_private_segment_fixed_size 0
		.amdhsa_kernarg_size 344
		.amdhsa_user_sgpr_count 6
		.amdhsa_user_sgpr_private_segment_buffer 1
		.amdhsa_user_sgpr_dispatch_ptr 0
		.amdhsa_user_sgpr_queue_ptr 0
		.amdhsa_user_sgpr_kernarg_segment_ptr 1
		.amdhsa_user_sgpr_dispatch_id 0
		.amdhsa_user_sgpr_flat_scratch_init 0
		.amdhsa_user_sgpr_kernarg_preload_length 0
		.amdhsa_user_sgpr_kernarg_preload_offset 0
		.amdhsa_user_sgpr_private_segment_size 0
		.amdhsa_uses_dynamic_stack 0
		.amdhsa_system_sgpr_private_segment_wavefront_offset 0
		.amdhsa_system_sgpr_workgroup_id_x 1
		.amdhsa_system_sgpr_workgroup_id_y 0
		.amdhsa_system_sgpr_workgroup_id_z 1
		.amdhsa_system_sgpr_workgroup_info 0
		.amdhsa_system_vgpr_workitem_id 0
		.amdhsa_next_free_vgpr 26
		.amdhsa_next_free_sgpr 40
		.amdhsa_accum_offset 28
		.amdhsa_reserve_vcc 1
		.amdhsa_reserve_flat_scratch 0
		.amdhsa_float_round_mode_32 0
		.amdhsa_float_round_mode_16_64 0
		.amdhsa_float_denorm_mode_32 3
		.amdhsa_float_denorm_mode_16_64 3
		.amdhsa_dx10_clamp 1
		.amdhsa_ieee_mode 1
		.amdhsa_fp16_overflow 0
		.amdhsa_tg_split 0
		.amdhsa_exception_fp_ieee_invalid_op 0
		.amdhsa_exception_fp_denorm_src 0
		.amdhsa_exception_fp_ieee_div_zero 0
		.amdhsa_exception_fp_ieee_overflow 0
		.amdhsa_exception_fp_ieee_underflow 0
		.amdhsa_exception_fp_ieee_inexact 0
		.amdhsa_exception_int_div_zero 0
	.end_amdhsa_kernel
	.section	.text._ZL20rocblas_tpmvn_kernelILi512EPK19rocblas_complex_numIdEPS1_S4_EvbbiT0_llT1_lllT2_li,"axG",@progbits,_ZL20rocblas_tpmvn_kernelILi512EPK19rocblas_complex_numIdEPS1_S4_EvbbiT0_llT1_lllT2_li,comdat
.Lfunc_end9:
	.size	_ZL20rocblas_tpmvn_kernelILi512EPK19rocblas_complex_numIdEPS1_S4_EvbbiT0_llT1_lllT2_li, .Lfunc_end9-_ZL20rocblas_tpmvn_kernelILi512EPK19rocblas_complex_numIdEPS1_S4_EvbbiT0_llT1_lllT2_li
                                        ; -- End function
	.section	.AMDGPU.csdata,"",@progbits
; Kernel info:
; codeLenInByte = 1204
; NumSgprs: 44
; NumVgprs: 26
; NumAgprs: 0
; TotalNumVgprs: 26
; ScratchSize: 0
; MemoryBound: 0
; FloatMode: 240
; IeeeMode: 1
; LDSByteSize: 0 bytes/workgroup (compile time only)
; SGPRBlocks: 5
; VGPRBlocks: 3
; NumSGPRsForWavesPerEU: 44
; NumVGPRsForWavesPerEU: 26
; AccumOffset: 28
; Occupancy: 8
; WaveLimiterHint : 0
; COMPUTE_PGM_RSRC2:SCRATCH_EN: 0
; COMPUTE_PGM_RSRC2:USER_SGPR: 6
; COMPUTE_PGM_RSRC2:TRAP_HANDLER: 0
; COMPUTE_PGM_RSRC2:TGID_X_EN: 1
; COMPUTE_PGM_RSRC2:TGID_Y_EN: 0
; COMPUTE_PGM_RSRC2:TGID_Z_EN: 1
; COMPUTE_PGM_RSRC2:TIDIG_COMP_CNT: 0
; COMPUTE_PGM_RSRC3_GFX90A:ACCUM_OFFSET: 6
; COMPUTE_PGM_RSRC3_GFX90A:TG_SPLIT: 0
	.section	.text._ZL20rocblas_tpmvt_kernelILi512EPK19rocblas_complex_numIdEPS1_S4_EvbbiT0_llT1_lllT2_li,"axG",@progbits,_ZL20rocblas_tpmvt_kernelILi512EPK19rocblas_complex_numIdEPS1_S4_EvbbiT0_llT1_lllT2_li,comdat
	.globl	_ZL20rocblas_tpmvt_kernelILi512EPK19rocblas_complex_numIdEPS1_S4_EvbbiT0_llT1_lllT2_li ; -- Begin function _ZL20rocblas_tpmvt_kernelILi512EPK19rocblas_complex_numIdEPS1_S4_EvbbiT0_llT1_lllT2_li
	.p2align	8
	.type	_ZL20rocblas_tpmvt_kernelILi512EPK19rocblas_complex_numIdEPS1_S4_EvbbiT0_llT1_lllT2_li,@function
_ZL20rocblas_tpmvt_kernelILi512EPK19rocblas_complex_numIdEPS1_S4_EvbbiT0_llT1_lllT2_li: ; @_ZL20rocblas_tpmvt_kernelILi512EPK19rocblas_complex_numIdEPS1_S4_EvbbiT0_llT1_lllT2_li
; %bb.0:
	s_load_dword s0, s[4:5], 0x64
	s_load_dwordx2 s[24:25], s[4:5], 0x0
	s_waitcnt lgkmcnt(0)
	s_and_b32 s0, s0, 0xffff
	s_mul_i32 s6, s6, s0
	v_add_u32_e32 v8, s6, v0
	v_cmp_gt_i32_e32 vcc, s25, v8
	s_and_saveexec_b64 s[0:1], vcc
	s_cbranch_execz .LBB10_18
; %bb.1:
	s_load_dword s0, s[4:5], 0x0
	s_load_dwordx16 s[8:23], s[4:5], 0x8
	v_ashrrev_i32_e32 v9, 31, v8
	s_waitcnt lgkmcnt(0)
	s_and_b32 s26, s0, 1
	s_mul_i32 s2, s7, s13
	s_mul_hi_u32 s3, s7, s12
	s_bitcmp1_b32 s24, 8
	s_cselect_b64 s[0:1], -1, 0
	s_add_i32 s3, s3, s2
	s_mul_i32 s2, s7, s12
	s_xor_b64 s[0:1], s[0:1], -1
	s_lshl_b64 s[2:3], s[2:3], 4
	s_add_u32 s6, s8, s2
	s_addc_u32 s12, s9, s3
	s_lshl_b64 s[10:11], s[10:11], 4
	s_add_u32 s6, s6, s10
	s_addc_u32 s24, s12, s11
	s_mul_i32 s12, s7, s21
	s_mul_hi_u32 s13, s7, s20
	s_add_i32 s13, s13, s12
	s_mul_i32 s12, s7, s20
	s_lshl_b64 s[12:13], s[12:13], 4
	s_add_u32 s20, s14, s12
	s_addc_u32 s21, s15, s13
	s_lshl_b64 s[16:17], s[16:17], 4
	s_add_u32 s27, s20, s16
	s_addc_u32 s28, s21, s17
	v_mul_lo_u32 v2, v8, s19
	v_mul_lo_u32 v3, v9, s18
	v_mad_u64_u32 v[0:1], s[20:21], v8, s18, 0
	v_add3_u32 v1, v1, v2, v3
	v_lshlrev_b64 v[0:1], 4, v[0:1]
	v_mov_b32_e32 v2, s28
	v_add_co_u32_e32 v0, vcc, s27, v0
	v_addc_co_u32_e32 v1, vcc, v2, v1, vcc
	global_load_dwordx4 v[0:3], v[0:1], off
	v_cndmask_b32_e64 v4, 0, 1, s[0:1]
	s_mov_b64 s[20:21], -1
	s_cmp_eq_u32 s26, 0
	v_cmp_ne_u32_e64 s[0:1], 1, v4
	s_cbranch_scc0 .LBB10_9
; %bb.2:
	s_and_b64 vcc, exec, s[0:1]
	s_waitcnt vmcnt(0)
	v_pk_mov_b32 v[4:5], v[0:1], v[0:1] op_sel:[0,1]
	v_pk_mov_b32 v[6:7], v[2:3], v[2:3] op_sel:[0,1]
	s_cbranch_vccnz .LBB10_4
; %bb.3:
	v_add_co_u32_e32 v6, vcc, -1, v8
	v_addc_co_u32_e32 v7, vcc, -1, v9, vcc
	v_mul_lo_u32 v10, v7, v8
	v_mul_lo_u32 v11, v6, v9
	v_mad_u64_u32 v[6:7], s[20:21], v6, v8, 0
	v_add3_u32 v7, v7, v11, v10
	v_mad_i64_i32 v[4:5], s[20:21], v8, s25, 0
	v_lshrrev_b64 v[6:7], 1, v[6:7]
	v_sub_co_u32_e32 v4, vcc, v4, v6
	v_subb_co_u32_e32 v5, vcc, v5, v7, vcc
	v_lshlrev_b64 v[4:5], 4, v[4:5]
	v_mov_b32_e32 v6, s24
	v_add_co_u32_e32 v4, vcc, s6, v4
	v_addc_co_u32_e32 v5, vcc, v6, v5, vcc
	global_load_dwordx4 v[10:13], v[4:5], off
	s_waitcnt vmcnt(0)
	v_mul_f64 v[4:5], v[2:3], v[12:13]
	v_mul_f64 v[6:7], v[0:1], v[12:13]
	v_fma_f64 v[4:5], v[0:1], v[10:11], -v[4:5]
	v_fmac_f64_e32 v[6:7], v[2:3], v[10:11]
.LBB10_4:
	v_add_u32_e32 v10, 1, v8
	v_cmp_gt_i32_e32 vcc, s25, v10
	s_and_saveexec_b64 s[20:21], vcc
	s_cbranch_execz .LBB10_8
; %bb.5:
	v_add_co_u32_e32 v11, vcc, -1, v8
	s_ashr_i32 s27, s25, 31
	s_mov_b32 s26, s25
	v_addc_co_u32_e32 v12, vcc, -1, v9, vcc
	v_mul_lo_u32 v14, v12, v8
	v_mad_u64_u32 v[12:13], s[28:29], v11, v8, 0
	s_lshl_b64 s[26:27], s[26:27], 4
	s_add_u32 s28, s26, -16
	s_addc_u32 s29, s27, -1
	s_add_u32 s26, s10, s2
	v_mul_lo_u32 v15, v11, v9
	s_addc_u32 s27, s11, s3
	v_add3_u32 v13, v13, v15, v14
	v_pk_mov_b32 v[14:15], s[26:27], s[26:27] op_sel:[0,1]
	v_mad_u64_u32 v[14:15], s[26:27], s28, v8, v[14:15]
	v_mul_lo_u32 v11, s28, v9
	v_mul_lo_u32 v16, s29, v8
	v_add3_u32 v15, v16, v15, v11
	v_ashrrev_i32_e32 v11, 31, v10
	v_lshlrev_b64 v[16:17], 4, v[10:11]
	v_add_co_u32_e32 v14, vcc, v14, v16
	v_lshlrev_b64 v[12:13], 3, v[12:13]
	v_addc_co_u32_e32 v15, vcc, v15, v17, vcc
	v_and_b32_e32 v12, -16, v12
	v_sub_co_u32_e32 v12, vcc, v14, v12
	v_subb_co_u32_e32 v13, vcc, v15, v13, vcc
	v_mov_b32_e32 v14, s9
	v_add_co_u32_e32 v12, vcc, s8, v12
	v_addc_co_u32_e32 v13, vcc, v13, v14, vcc
	v_mad_u64_u32 v[14:15], s[26:27], s18, v10, 0
	s_add_u32 s26, s14, s16
	v_mul_lo_u32 v16, s19, v10
	v_mul_lo_u32 v11, s18, v11
	s_addc_u32 s27, s15, s17
	v_add_co_u32_e32 v12, vcc, 8, v12
	v_add3_u32 v15, v15, v11, v16
	s_add_u32 s26, s26, s12
	v_addc_co_u32_e32 v13, vcc, 0, v13, vcc
	v_lshlrev_b64 v[14:15], 4, v[14:15]
	s_addc_u32 s27, s27, s13
	v_mov_b32_e32 v11, s27
	v_add_co_u32_e32 v14, vcc, s26, v14
	v_addc_co_u32_e32 v11, vcc, v11, v15, vcc
	v_add_co_u32_e32 v14, vcc, 8, v14
	s_lshl_b64 s[28:29], s[18:19], 4
	v_addc_co_u32_e32 v15, vcc, 0, v11, vcc
	s_mov_b64 s[26:27], 0
	v_mov_b32_e32 v11, s29
.LBB10_6:                               ; =>This Inner Loop Header: Depth=1
	global_load_dwordx4 v[16:19], v[14:15], off offset:-8
	global_load_dwordx4 v[20:23], v[12:13], off offset:-8
	v_add_co_u32_e32 v12, vcc, 16, v12
	v_addc_co_u32_e32 v13, vcc, 0, v13, vcc
	v_add_co_u32_e32 v14, vcc, s28, v14
	v_add_u32_e32 v10, 1, v10
	v_addc_co_u32_e32 v15, vcc, v15, v11, vcc
	v_cmp_le_i32_e32 vcc, s25, v10
	s_or_b64 s[26:27], vcc, s[26:27]
	s_waitcnt vmcnt(0)
	v_mul_f64 v[24:25], v[18:19], v[22:23]
	v_mul_f64 v[22:23], v[16:17], v[22:23]
	v_fma_f64 v[16:17], v[16:17], v[20:21], -v[24:25]
	v_fmac_f64_e32 v[22:23], v[18:19], v[20:21]
	v_add_f64 v[4:5], v[4:5], v[16:17]
	v_add_f64 v[6:7], v[6:7], v[22:23]
	s_andn2_b64 exec, exec, s[26:27]
	s_cbranch_execnz .LBB10_6
; %bb.7:
	s_or_b64 exec, exec, s[26:27]
.LBB10_8:
	s_or_b64 exec, exec, s[20:21]
	s_branch .LBB10_17
.LBB10_9:
                                        ; implicit-def: $vgpr6_vgpr7
	s_and_b64 vcc, exec, s[20:21]
	s_cbranch_vccz .LBB10_17
; %bb.10:
	s_and_b64 vcc, exec, s[0:1]
	v_add_u32_e32 v4, 1, v8
	s_cbranch_vccnz .LBB10_12
; %bb.11:
	v_mad_i64_i32 v[6:7], s[0:1], v4, v8, 0
	v_lshlrev_b64 v[6:7], 3, v[6:7]
	v_and_b32_e32 v5, -16, v6
	v_mov_b32_e32 v6, s24
	v_add_co_u32_e32 v5, vcc, s6, v5
	v_addc_co_u32_e32 v10, vcc, v6, v7, vcc
	v_lshlrev_b64 v[6:7], 4, v[8:9]
	v_add_co_u32_e32 v6, vcc, v5, v6
	v_addc_co_u32_e32 v7, vcc, v10, v7, vcc
	global_load_dwordx4 v[10:13], v[6:7], off
	s_waitcnt vmcnt(0)
	v_mul_f64 v[6:7], v[2:3], v[12:13]
	v_mul_f64 v[12:13], v[0:1], v[12:13]
	v_fmac_f64_e32 v[12:13], v[2:3], v[10:11]
	v_fma_f64 v[0:1], v[0:1], v[10:11], -v[6:7]
	v_pk_mov_b32 v[2:3], v[12:13], v[12:13] op_sel:[0,1]
.LBB10_12:
	v_cmp_lt_i32_e32 vcc, 0, v8
	s_and_saveexec_b64 s[0:1], vcc
	s_cbranch_execz .LBB10_16
; %bb.13:
	s_add_u32 s6, s12, s16
	s_addc_u32 s12, s13, s17
	s_add_u32 s6, s6, s14
	s_addc_u32 s12, s12, s15
	v_mad_u64_u32 v[6:7], s[20:21], v4, v8, 0
	s_add_u32 s6, s6, 8
	v_mov_b32_e32 v10, v7
	s_addc_u32 s14, s12, 0
	s_lshl_b64 s[12:13], s[18:19], 4
	v_mad_u64_u32 v[4:5], s[20:21], v4, v9, v[10:11]
	s_add_u32 s2, s2, s10
	v_mov_b32_e32 v7, v4
	s_addc_u32 s3, s3, s11
	v_lshlrev_b64 v[4:5], 3, v[6:7]
	s_add_u32 s2, s8, s2
	v_and_b32_e32 v4, -16, v4
	s_addc_u32 s3, s9, s3
	v_mov_b32_e32 v6, s3
	v_add_co_u32_e32 v4, vcc, s2, v4
	v_addc_co_u32_e32 v5, vcc, v6, v5, vcc
	v_add_co_u32_e32 v4, vcc, 8, v4
	v_addc_co_u32_e32 v5, vcc, 0, v5, vcc
	s_mov_b64 s[2:3], 0
	v_mov_b32_e32 v6, v8
.LBB10_14:                              ; =>This Inner Loop Header: Depth=1
	global_load_dwordx4 v[10:13], v[4:5], off offset:-8
	s_add_u32 s8, s6, -8
	s_addc_u32 s9, s14, -1
	s_load_dwordx4 s[8:11], s[8:9], 0x0
	v_add_co_u32_e32 v4, vcc, 16, v4
	v_add_u32_e32 v6, -1, v6
	v_addc_co_u32_e32 v5, vcc, 0, v5, vcc
	s_add_u32 s6, s6, s12
	v_cmp_eq_u32_e32 vcc, 0, v6
	s_addc_u32 s14, s14, s13
	s_or_b64 s[2:3], vcc, s[2:3]
	s_waitcnt vmcnt(0) lgkmcnt(0)
	v_mul_f64 v[14:15], s[10:11], v[12:13]
	v_mul_f64 v[12:13], s[8:9], v[12:13]
	v_fma_f64 v[14:15], s[8:9], v[10:11], -v[14:15]
	v_fmac_f64_e32 v[12:13], s[10:11], v[10:11]
	v_add_f64 v[0:1], v[0:1], v[14:15]
	v_add_f64 v[2:3], v[2:3], v[12:13]
	s_andn2_b64 exec, exec, s[2:3]
	s_cbranch_execnz .LBB10_14
; %bb.15:
	s_or_b64 exec, exec, s[2:3]
.LBB10_16:
	s_or_b64 exec, exec, s[0:1]
	s_waitcnt vmcnt(0)
	v_pk_mov_b32 v[6:7], v[2:3], v[2:3] op_sel:[0,1]
	v_pk_mov_b32 v[4:5], v[0:1], v[0:1] op_sel:[0,1]
.LBB10_17:
	s_load_dwordx2 s[0:1], s[4:5], 0x48
	s_waitcnt vmcnt(0)
	v_lshlrev_b64 v[0:1], 4, v[8:9]
	s_waitcnt lgkmcnt(0)
	s_mul_i32 s1, s7, s1
	s_mul_hi_u32 s2, s7, s0
	s_mul_i32 s0, s7, s0
	s_add_i32 s1, s2, s1
	s_lshl_b64 s[0:1], s[0:1], 4
	s_add_u32 s0, s22, s0
	s_addc_u32 s1, s23, s1
	v_mov_b32_e32 v2, s1
	v_add_co_u32_e32 v0, vcc, s0, v0
	v_addc_co_u32_e32 v1, vcc, v2, v1, vcc
	global_store_dwordx4 v[0:1], v[4:7], off
.LBB10_18:
	s_endpgm
	.section	.rodata,"a",@progbits
	.p2align	6, 0x0
	.amdhsa_kernel _ZL20rocblas_tpmvt_kernelILi512EPK19rocblas_complex_numIdEPS1_S4_EvbbiT0_llT1_lllT2_li
		.amdhsa_group_segment_fixed_size 0
		.amdhsa_private_segment_fixed_size 0
		.amdhsa_kernarg_size 344
		.amdhsa_user_sgpr_count 6
		.amdhsa_user_sgpr_private_segment_buffer 1
		.amdhsa_user_sgpr_dispatch_ptr 0
		.amdhsa_user_sgpr_queue_ptr 0
		.amdhsa_user_sgpr_kernarg_segment_ptr 1
		.amdhsa_user_sgpr_dispatch_id 0
		.amdhsa_user_sgpr_flat_scratch_init 0
		.amdhsa_user_sgpr_kernarg_preload_length 0
		.amdhsa_user_sgpr_kernarg_preload_offset 0
		.amdhsa_user_sgpr_private_segment_size 0
		.amdhsa_uses_dynamic_stack 0
		.amdhsa_system_sgpr_private_segment_wavefront_offset 0
		.amdhsa_system_sgpr_workgroup_id_x 1
		.amdhsa_system_sgpr_workgroup_id_y 0
		.amdhsa_system_sgpr_workgroup_id_z 1
		.amdhsa_system_sgpr_workgroup_info 0
		.amdhsa_system_vgpr_workitem_id 0
		.amdhsa_next_free_vgpr 26
		.amdhsa_next_free_sgpr 30
		.amdhsa_accum_offset 28
		.amdhsa_reserve_vcc 1
		.amdhsa_reserve_flat_scratch 0
		.amdhsa_float_round_mode_32 0
		.amdhsa_float_round_mode_16_64 0
		.amdhsa_float_denorm_mode_32 3
		.amdhsa_float_denorm_mode_16_64 3
		.amdhsa_dx10_clamp 1
		.amdhsa_ieee_mode 1
		.amdhsa_fp16_overflow 0
		.amdhsa_tg_split 0
		.amdhsa_exception_fp_ieee_invalid_op 0
		.amdhsa_exception_fp_denorm_src 0
		.amdhsa_exception_fp_ieee_div_zero 0
		.amdhsa_exception_fp_ieee_overflow 0
		.amdhsa_exception_fp_ieee_underflow 0
		.amdhsa_exception_fp_ieee_inexact 0
		.amdhsa_exception_int_div_zero 0
	.end_amdhsa_kernel
	.section	.text._ZL20rocblas_tpmvt_kernelILi512EPK19rocblas_complex_numIdEPS1_S4_EvbbiT0_llT1_lllT2_li,"axG",@progbits,_ZL20rocblas_tpmvt_kernelILi512EPK19rocblas_complex_numIdEPS1_S4_EvbbiT0_llT1_lllT2_li,comdat
.Lfunc_end10:
	.size	_ZL20rocblas_tpmvt_kernelILi512EPK19rocblas_complex_numIdEPS1_S4_EvbbiT0_llT1_lllT2_li, .Lfunc_end10-_ZL20rocblas_tpmvt_kernelILi512EPK19rocblas_complex_numIdEPS1_S4_EvbbiT0_llT1_lllT2_li
                                        ; -- End function
	.section	.AMDGPU.csdata,"",@progbits
; Kernel info:
; codeLenInByte = 1240
; NumSgprs: 34
; NumVgprs: 26
; NumAgprs: 0
; TotalNumVgprs: 26
; ScratchSize: 0
; MemoryBound: 0
; FloatMode: 240
; IeeeMode: 1
; LDSByteSize: 0 bytes/workgroup (compile time only)
; SGPRBlocks: 4
; VGPRBlocks: 3
; NumSGPRsForWavesPerEU: 34
; NumVGPRsForWavesPerEU: 26
; AccumOffset: 28
; Occupancy: 8
; WaveLimiterHint : 0
; COMPUTE_PGM_RSRC2:SCRATCH_EN: 0
; COMPUTE_PGM_RSRC2:USER_SGPR: 6
; COMPUTE_PGM_RSRC2:TRAP_HANDLER: 0
; COMPUTE_PGM_RSRC2:TGID_X_EN: 1
; COMPUTE_PGM_RSRC2:TGID_Y_EN: 0
; COMPUTE_PGM_RSRC2:TGID_Z_EN: 1
; COMPUTE_PGM_RSRC2:TIDIG_COMP_CNT: 0
; COMPUTE_PGM_RSRC3_GFX90A:ACCUM_OFFSET: 6
; COMPUTE_PGM_RSRC3_GFX90A:TG_SPLIT: 0
	.section	.text._ZL20rocblas_tpmvc_kernelILi512EPK19rocblas_complex_numIdEPS1_S4_EvbbiT0_llT1_lllT2_li,"axG",@progbits,_ZL20rocblas_tpmvc_kernelILi512EPK19rocblas_complex_numIdEPS1_S4_EvbbiT0_llT1_lllT2_li,comdat
	.globl	_ZL20rocblas_tpmvc_kernelILi512EPK19rocblas_complex_numIdEPS1_S4_EvbbiT0_llT1_lllT2_li ; -- Begin function _ZL20rocblas_tpmvc_kernelILi512EPK19rocblas_complex_numIdEPS1_S4_EvbbiT0_llT1_lllT2_li
	.p2align	8
	.type	_ZL20rocblas_tpmvc_kernelILi512EPK19rocblas_complex_numIdEPS1_S4_EvbbiT0_llT1_lllT2_li,@function
_ZL20rocblas_tpmvc_kernelILi512EPK19rocblas_complex_numIdEPS1_S4_EvbbiT0_llT1_lllT2_li: ; @_ZL20rocblas_tpmvc_kernelILi512EPK19rocblas_complex_numIdEPS1_S4_EvbbiT0_llT1_lllT2_li
; %bb.0:
	s_load_dword s0, s[4:5], 0x64
	s_load_dwordx2 s[24:25], s[4:5], 0x0
	s_waitcnt lgkmcnt(0)
	s_and_b32 s0, s0, 0xffff
	s_mul_i32 s6, s6, s0
	v_add_u32_e32 v8, s6, v0
	v_cmp_gt_i32_e32 vcc, s25, v8
	s_and_saveexec_b64 s[0:1], vcc
	s_cbranch_execz .LBB11_18
; %bb.1:
	s_load_dword s0, s[4:5], 0x0
	s_load_dwordx16 s[8:23], s[4:5], 0x8
	v_ashrrev_i32_e32 v9, 31, v8
	s_waitcnt lgkmcnt(0)
	s_and_b32 s26, s0, 1
	s_mul_i32 s2, s7, s13
	s_mul_hi_u32 s3, s7, s12
	s_bitcmp1_b32 s24, 8
	s_cselect_b64 s[0:1], -1, 0
	s_add_i32 s3, s3, s2
	s_mul_i32 s2, s7, s12
	s_xor_b64 s[0:1], s[0:1], -1
	s_lshl_b64 s[2:3], s[2:3], 4
	s_add_u32 s6, s8, s2
	s_addc_u32 s12, s9, s3
	s_lshl_b64 s[10:11], s[10:11], 4
	s_add_u32 s6, s6, s10
	s_addc_u32 s24, s12, s11
	s_mul_i32 s12, s7, s21
	s_mul_hi_u32 s13, s7, s20
	s_add_i32 s13, s13, s12
	s_mul_i32 s12, s7, s20
	s_lshl_b64 s[12:13], s[12:13], 4
	s_add_u32 s20, s14, s12
	s_addc_u32 s21, s15, s13
	s_lshl_b64 s[16:17], s[16:17], 4
	s_add_u32 s27, s20, s16
	s_addc_u32 s28, s21, s17
	v_mul_lo_u32 v2, v8, s19
	v_mul_lo_u32 v3, v9, s18
	v_mad_u64_u32 v[0:1], s[20:21], v8, s18, 0
	v_add3_u32 v1, v1, v2, v3
	v_lshlrev_b64 v[0:1], 4, v[0:1]
	v_mov_b32_e32 v2, s28
	v_add_co_u32_e32 v0, vcc, s27, v0
	v_addc_co_u32_e32 v1, vcc, v2, v1, vcc
	global_load_dwordx4 v[0:3], v[0:1], off
	v_cndmask_b32_e64 v4, 0, 1, s[0:1]
	s_mov_b64 s[20:21], -1
	s_cmp_eq_u32 s26, 0
	v_cmp_ne_u32_e64 s[0:1], 1, v4
	s_cbranch_scc0 .LBB11_9
; %bb.2:
	s_and_b64 vcc, exec, s[0:1]
	s_waitcnt vmcnt(0)
	v_pk_mov_b32 v[4:5], v[0:1], v[0:1] op_sel:[0,1]
	v_pk_mov_b32 v[6:7], v[2:3], v[2:3] op_sel:[0,1]
	s_cbranch_vccnz .LBB11_4
; %bb.3:
	v_add_co_u32_e32 v6, vcc, -1, v8
	v_addc_co_u32_e32 v7, vcc, -1, v9, vcc
	v_mul_lo_u32 v10, v7, v8
	v_mul_lo_u32 v11, v6, v9
	v_mad_u64_u32 v[6:7], s[20:21], v6, v8, 0
	v_add3_u32 v7, v7, v11, v10
	v_mad_i64_i32 v[4:5], s[20:21], v8, s25, 0
	v_lshrrev_b64 v[6:7], 1, v[6:7]
	v_sub_co_u32_e32 v4, vcc, v4, v6
	v_subb_co_u32_e32 v5, vcc, v5, v7, vcc
	v_lshlrev_b64 v[4:5], 4, v[4:5]
	v_mov_b32_e32 v6, s24
	v_add_co_u32_e32 v4, vcc, s6, v4
	v_addc_co_u32_e32 v5, vcc, v6, v5, vcc
	global_load_dwordx4 v[10:13], v[4:5], off
	s_waitcnt vmcnt(0)
	v_mul_f64 v[4:5], v[2:3], v[12:13]
	v_mul_f64 v[6:7], v[0:1], v[12:13]
	v_fmac_f64_e32 v[4:5], v[0:1], v[10:11]
	v_fma_f64 v[6:7], v[2:3], v[10:11], -v[6:7]
.LBB11_4:
	v_add_u32_e32 v10, 1, v8
	v_cmp_gt_i32_e32 vcc, s25, v10
	s_and_saveexec_b64 s[20:21], vcc
	s_cbranch_execz .LBB11_8
; %bb.5:
	v_add_co_u32_e32 v11, vcc, -1, v8
	s_ashr_i32 s27, s25, 31
	s_mov_b32 s26, s25
	v_addc_co_u32_e32 v12, vcc, -1, v9, vcc
	v_mul_lo_u32 v14, v12, v8
	v_mad_u64_u32 v[12:13], s[28:29], v11, v8, 0
	s_lshl_b64 s[26:27], s[26:27], 4
	s_add_u32 s28, s26, -16
	s_addc_u32 s29, s27, -1
	s_add_u32 s26, s10, s2
	v_mul_lo_u32 v15, v11, v9
	s_addc_u32 s27, s11, s3
	v_add3_u32 v13, v13, v15, v14
	v_pk_mov_b32 v[14:15], s[26:27], s[26:27] op_sel:[0,1]
	v_mad_u64_u32 v[14:15], s[26:27], s28, v8, v[14:15]
	v_mul_lo_u32 v11, s28, v9
	v_mul_lo_u32 v16, s29, v8
	v_add3_u32 v15, v16, v15, v11
	v_ashrrev_i32_e32 v11, 31, v10
	v_lshlrev_b64 v[16:17], 4, v[10:11]
	v_add_co_u32_e32 v14, vcc, v14, v16
	v_lshlrev_b64 v[12:13], 3, v[12:13]
	v_addc_co_u32_e32 v15, vcc, v15, v17, vcc
	v_and_b32_e32 v12, -16, v12
	v_sub_co_u32_e32 v12, vcc, v14, v12
	v_subb_co_u32_e32 v13, vcc, v15, v13, vcc
	v_mov_b32_e32 v14, s9
	v_add_co_u32_e32 v12, vcc, s8, v12
	v_addc_co_u32_e32 v13, vcc, v13, v14, vcc
	v_mad_u64_u32 v[14:15], s[26:27], s18, v10, 0
	s_add_u32 s26, s14, s16
	v_mul_lo_u32 v16, s19, v10
	v_mul_lo_u32 v11, s18, v11
	s_addc_u32 s27, s15, s17
	v_add_co_u32_e32 v12, vcc, 8, v12
	v_add3_u32 v15, v15, v11, v16
	s_add_u32 s26, s26, s12
	v_addc_co_u32_e32 v13, vcc, 0, v13, vcc
	v_lshlrev_b64 v[14:15], 4, v[14:15]
	s_addc_u32 s27, s27, s13
	v_mov_b32_e32 v11, s27
	v_add_co_u32_e32 v14, vcc, s26, v14
	v_addc_co_u32_e32 v11, vcc, v11, v15, vcc
	v_add_co_u32_e32 v14, vcc, 8, v14
	s_lshl_b64 s[28:29], s[18:19], 4
	v_addc_co_u32_e32 v15, vcc, 0, v11, vcc
	s_mov_b64 s[26:27], 0
	v_mov_b32_e32 v11, s29
.LBB11_6:                               ; =>This Inner Loop Header: Depth=1
	global_load_dwordx4 v[16:19], v[12:13], off offset:-8
	global_load_dwordx4 v[20:23], v[14:15], off offset:-8
	v_add_co_u32_e32 v12, vcc, 16, v12
	v_addc_co_u32_e32 v13, vcc, 0, v13, vcc
	v_add_co_u32_e32 v14, vcc, s28, v14
	v_add_u32_e32 v10, 1, v10
	v_addc_co_u32_e32 v15, vcc, v15, v11, vcc
	v_cmp_le_i32_e32 vcc, s25, v10
	s_or_b64 s[26:27], vcc, s[26:27]
	s_waitcnt vmcnt(0)
	v_mul_f64 v[24:25], v[18:19], v[22:23]
	v_mul_f64 v[18:19], v[18:19], v[20:21]
	v_fmac_f64_e32 v[24:25], v[16:17], v[20:21]
	v_fma_f64 v[16:17], v[16:17], v[22:23], -v[18:19]
	v_add_f64 v[4:5], v[4:5], v[24:25]
	v_add_f64 v[6:7], v[6:7], v[16:17]
	s_andn2_b64 exec, exec, s[26:27]
	s_cbranch_execnz .LBB11_6
; %bb.7:
	s_or_b64 exec, exec, s[26:27]
.LBB11_8:
	s_or_b64 exec, exec, s[20:21]
	s_branch .LBB11_17
.LBB11_9:
                                        ; implicit-def: $vgpr6_vgpr7
	s_and_b64 vcc, exec, s[20:21]
	s_cbranch_vccz .LBB11_17
; %bb.10:
	s_and_b64 vcc, exec, s[0:1]
	v_add_u32_e32 v4, 1, v8
	s_cbranch_vccnz .LBB11_12
; %bb.11:
	v_mad_i64_i32 v[6:7], s[0:1], v4, v8, 0
	v_lshlrev_b64 v[6:7], 3, v[6:7]
	v_and_b32_e32 v5, -16, v6
	v_mov_b32_e32 v6, s24
	v_add_co_u32_e32 v5, vcc, s6, v5
	v_addc_co_u32_e32 v10, vcc, v6, v7, vcc
	v_lshlrev_b64 v[6:7], 4, v[8:9]
	v_add_co_u32_e32 v6, vcc, v5, v6
	v_addc_co_u32_e32 v7, vcc, v10, v7, vcc
	global_load_dwordx4 v[10:13], v[6:7], off
	s_waitcnt vmcnt(0)
	v_mul_f64 v[6:7], v[2:3], v[12:13]
	v_mul_f64 v[12:13], v[0:1], v[12:13]
	v_fmac_f64_e32 v[6:7], v[0:1], v[10:11]
	v_fma_f64 v[2:3], v[2:3], v[10:11], -v[12:13]
	v_pk_mov_b32 v[0:1], v[6:7], v[6:7] op_sel:[0,1]
.LBB11_12:
	v_cmp_lt_i32_e32 vcc, 0, v8
	s_and_saveexec_b64 s[0:1], vcc
	s_cbranch_execz .LBB11_16
; %bb.13:
	s_add_u32 s6, s12, s16
	s_addc_u32 s12, s13, s17
	s_add_u32 s6, s6, s14
	s_addc_u32 s12, s12, s15
	v_mad_u64_u32 v[6:7], s[20:21], v4, v8, 0
	s_add_u32 s6, s6, 8
	v_mov_b32_e32 v10, v7
	s_addc_u32 s14, s12, 0
	s_lshl_b64 s[12:13], s[18:19], 4
	v_mad_u64_u32 v[4:5], s[20:21], v4, v9, v[10:11]
	s_add_u32 s2, s2, s10
	v_mov_b32_e32 v7, v4
	s_addc_u32 s3, s3, s11
	v_lshlrev_b64 v[4:5], 3, v[6:7]
	s_add_u32 s2, s8, s2
	v_and_b32_e32 v4, -16, v4
	s_addc_u32 s3, s9, s3
	v_mov_b32_e32 v6, s3
	v_add_co_u32_e32 v4, vcc, s2, v4
	v_addc_co_u32_e32 v5, vcc, v6, v5, vcc
	v_add_co_u32_e32 v4, vcc, 8, v4
	v_addc_co_u32_e32 v5, vcc, 0, v5, vcc
	s_mov_b64 s[2:3], 0
	v_mov_b32_e32 v6, v8
.LBB11_14:                              ; =>This Inner Loop Header: Depth=1
	global_load_dwordx4 v[10:13], v[4:5], off offset:-8
	s_add_u32 s8, s6, -8
	s_addc_u32 s9, s14, -1
	s_load_dwordx4 s[8:11], s[8:9], 0x0
	v_add_co_u32_e32 v4, vcc, 16, v4
	v_add_u32_e32 v6, -1, v6
	v_addc_co_u32_e32 v5, vcc, 0, v5, vcc
	s_add_u32 s6, s6, s12
	v_cmp_eq_u32_e32 vcc, 0, v6
	s_addc_u32 s14, s14, s13
	s_or_b64 s[2:3], vcc, s[2:3]
	s_waitcnt vmcnt(0) lgkmcnt(0)
	v_mul_f64 v[14:15], v[12:13], s[10:11]
	v_mul_f64 v[12:13], v[12:13], s[8:9]
	v_fmac_f64_e32 v[14:15], s[8:9], v[10:11]
	v_fma_f64 v[10:11], v[10:11], s[10:11], -v[12:13]
	v_add_f64 v[0:1], v[0:1], v[14:15]
	v_add_f64 v[2:3], v[2:3], v[10:11]
	s_andn2_b64 exec, exec, s[2:3]
	s_cbranch_execnz .LBB11_14
; %bb.15:
	s_or_b64 exec, exec, s[2:3]
.LBB11_16:
	s_or_b64 exec, exec, s[0:1]
	s_waitcnt vmcnt(0)
	v_pk_mov_b32 v[6:7], v[2:3], v[2:3] op_sel:[0,1]
	v_pk_mov_b32 v[4:5], v[0:1], v[0:1] op_sel:[0,1]
.LBB11_17:
	s_load_dwordx2 s[0:1], s[4:5], 0x48
	s_waitcnt vmcnt(0)
	v_lshlrev_b64 v[0:1], 4, v[8:9]
	s_waitcnt lgkmcnt(0)
	s_mul_i32 s1, s7, s1
	s_mul_hi_u32 s2, s7, s0
	s_mul_i32 s0, s7, s0
	s_add_i32 s1, s2, s1
	s_lshl_b64 s[0:1], s[0:1], 4
	s_add_u32 s0, s22, s0
	s_addc_u32 s1, s23, s1
	v_mov_b32_e32 v2, s1
	v_add_co_u32_e32 v0, vcc, s0, v0
	v_addc_co_u32_e32 v1, vcc, v2, v1, vcc
	global_store_dwordx4 v[0:1], v[4:7], off
.LBB11_18:
	s_endpgm
	.section	.rodata,"a",@progbits
	.p2align	6, 0x0
	.amdhsa_kernel _ZL20rocblas_tpmvc_kernelILi512EPK19rocblas_complex_numIdEPS1_S4_EvbbiT0_llT1_lllT2_li
		.amdhsa_group_segment_fixed_size 0
		.amdhsa_private_segment_fixed_size 0
		.amdhsa_kernarg_size 344
		.amdhsa_user_sgpr_count 6
		.amdhsa_user_sgpr_private_segment_buffer 1
		.amdhsa_user_sgpr_dispatch_ptr 0
		.amdhsa_user_sgpr_queue_ptr 0
		.amdhsa_user_sgpr_kernarg_segment_ptr 1
		.amdhsa_user_sgpr_dispatch_id 0
		.amdhsa_user_sgpr_flat_scratch_init 0
		.amdhsa_user_sgpr_kernarg_preload_length 0
		.amdhsa_user_sgpr_kernarg_preload_offset 0
		.amdhsa_user_sgpr_private_segment_size 0
		.amdhsa_uses_dynamic_stack 0
		.amdhsa_system_sgpr_private_segment_wavefront_offset 0
		.amdhsa_system_sgpr_workgroup_id_x 1
		.amdhsa_system_sgpr_workgroup_id_y 0
		.amdhsa_system_sgpr_workgroup_id_z 1
		.amdhsa_system_sgpr_workgroup_info 0
		.amdhsa_system_vgpr_workitem_id 0
		.amdhsa_next_free_vgpr 26
		.amdhsa_next_free_sgpr 30
		.amdhsa_accum_offset 28
		.amdhsa_reserve_vcc 1
		.amdhsa_reserve_flat_scratch 0
		.amdhsa_float_round_mode_32 0
		.amdhsa_float_round_mode_16_64 0
		.amdhsa_float_denorm_mode_32 3
		.amdhsa_float_denorm_mode_16_64 3
		.amdhsa_dx10_clamp 1
		.amdhsa_ieee_mode 1
		.amdhsa_fp16_overflow 0
		.amdhsa_tg_split 0
		.amdhsa_exception_fp_ieee_invalid_op 0
		.amdhsa_exception_fp_denorm_src 0
		.amdhsa_exception_fp_ieee_div_zero 0
		.amdhsa_exception_fp_ieee_overflow 0
		.amdhsa_exception_fp_ieee_underflow 0
		.amdhsa_exception_fp_ieee_inexact 0
		.amdhsa_exception_int_div_zero 0
	.end_amdhsa_kernel
	.section	.text._ZL20rocblas_tpmvc_kernelILi512EPK19rocblas_complex_numIdEPS1_S4_EvbbiT0_llT1_lllT2_li,"axG",@progbits,_ZL20rocblas_tpmvc_kernelILi512EPK19rocblas_complex_numIdEPS1_S4_EvbbiT0_llT1_lllT2_li,comdat
.Lfunc_end11:
	.size	_ZL20rocblas_tpmvc_kernelILi512EPK19rocblas_complex_numIdEPS1_S4_EvbbiT0_llT1_lllT2_li, .Lfunc_end11-_ZL20rocblas_tpmvc_kernelILi512EPK19rocblas_complex_numIdEPS1_S4_EvbbiT0_llT1_lllT2_li
                                        ; -- End function
	.section	.AMDGPU.csdata,"",@progbits
; Kernel info:
; codeLenInByte = 1240
; NumSgprs: 34
; NumVgprs: 26
; NumAgprs: 0
; TotalNumVgprs: 26
; ScratchSize: 0
; MemoryBound: 0
; FloatMode: 240
; IeeeMode: 1
; LDSByteSize: 0 bytes/workgroup (compile time only)
; SGPRBlocks: 4
; VGPRBlocks: 3
; NumSGPRsForWavesPerEU: 34
; NumVGPRsForWavesPerEU: 26
; AccumOffset: 28
; Occupancy: 8
; WaveLimiterHint : 0
; COMPUTE_PGM_RSRC2:SCRATCH_EN: 0
; COMPUTE_PGM_RSRC2:USER_SGPR: 6
; COMPUTE_PGM_RSRC2:TRAP_HANDLER: 0
; COMPUTE_PGM_RSRC2:TGID_X_EN: 1
; COMPUTE_PGM_RSRC2:TGID_Y_EN: 0
; COMPUTE_PGM_RSRC2:TGID_Z_EN: 1
; COMPUTE_PGM_RSRC2:TIDIG_COMP_CNT: 0
; COMPUTE_PGM_RSRC3_GFX90A:ACCUM_OFFSET: 6
; COMPUTE_PGM_RSRC3_GFX90A:TG_SPLIT: 0
	.section	.text._ZL20rocblas_tpmvn_kernelILi512EPKPKfPKPfS4_EvbbiT0_llT1_lllT2_li,"axG",@progbits,_ZL20rocblas_tpmvn_kernelILi512EPKPKfPKPfS4_EvbbiT0_llT1_lllT2_li,comdat
	.globl	_ZL20rocblas_tpmvn_kernelILi512EPKPKfPKPfS4_EvbbiT0_llT1_lllT2_li ; -- Begin function _ZL20rocblas_tpmvn_kernelILi512EPKPKfPKPfS4_EvbbiT0_llT1_lllT2_li
	.p2align	8
	.type	_ZL20rocblas_tpmvn_kernelILi512EPKPKfPKPfS4_EvbbiT0_llT1_lllT2_li,@function
_ZL20rocblas_tpmvn_kernelILi512EPKPKfPKPfS4_EvbbiT0_llT1_lllT2_li: ; @_ZL20rocblas_tpmvn_kernelILi512EPKPKfPKPfS4_EvbbiT0_llT1_lllT2_li
; %bb.0:
	s_load_dword s0, s[4:5], 0x64
	s_load_dwordx2 s[10:11], s[4:5], 0x0
	s_waitcnt lgkmcnt(0)
	s_and_b32 s0, s0, 0xffff
	s_mul_i32 s6, s6, s0
	v_add_u32_e32 v0, s6, v0
	v_cmp_gt_i32_e32 vcc, s11, v0
	s_and_saveexec_b64 s[0:1], vcc
	s_cbranch_execz .LBB12_18
; %bb.1:
	s_mov_b32 s8, s7
	s_load_dword s12, s[4:5], 0x0
	s_load_dwordx4 s[0:3], s[4:5], 0x8
	s_load_dwordx2 s[6:7], s[4:5], 0x30
	s_mov_b32 s9, 0
	v_ashrrev_i32_e32 v1, 31, v0
	s_waitcnt lgkmcnt(0)
	s_and_b32 s24, s12, 1
	s_bitcmp1_b32 s10, 8
	s_cselect_b64 s[12:13], -1, 0
	s_lshl_b64 s[16:17], s[8:9], 3
	s_xor_b64 s[22:23], s[12:13], -1
	s_add_u32 s0, s0, s16
	s_addc_u32 s1, s1, s17
	s_load_dwordx2 s[18:19], s[0:1], 0x0
	s_load_dwordx4 s[12:15], s[4:5], 0x20
	s_lshl_b64 s[20:21], s[2:3], 2
	v_mul_lo_u32 v4, v0, s7
	v_mul_lo_u32 v5, v1, s6
	s_waitcnt lgkmcnt(0)
	s_add_u32 s9, s18, s20
	s_addc_u32 s10, s19, s21
	s_add_u32 s0, s12, s16
	s_addc_u32 s1, s13, s17
	s_load_dwordx2 s[2:3], s[0:1], 0x0
	v_mad_u64_u32 v[2:3], s[0:1], v0, s6, 0
	s_lshl_b64 s[12:13], s[14:15], 2
	v_add3_u32 v3, v3, v4, v5
	s_waitcnt lgkmcnt(0)
	s_add_u32 s14, s2, s12
	s_addc_u32 s15, s3, s13
	v_lshlrev_b64 v[2:3], 2, v[2:3]
	v_mov_b32_e32 v4, s15
	v_add_co_u32_e32 v2, vcc, s14, v2
	v_addc_co_u32_e32 v3, vcc, v4, v3, vcc
	global_load_dword v8, v[2:3], off
	v_cndmask_b32_e64 v2, 0, 1, s[22:23]
	s_mov_b64 s[16:17], -1
	s_cmp_eq_u32 s24, 0
	v_cmp_ne_u32_e64 s[0:1], 1, v2
	s_cbranch_scc0 .LBB12_9
; %bb.2:
	s_and_b64 vcc, exec, s[0:1]
	s_waitcnt vmcnt(0)
	v_mov_b32_e32 v4, v8
	s_cbranch_vccnz .LBB12_4
; %bb.3:
	v_add_co_u32_e32 v4, vcc, -1, v0
	v_addc_co_u32_e32 v5, vcc, -1, v1, vcc
	v_mul_lo_u32 v6, v5, v0
	v_mul_lo_u32 v7, v4, v1
	v_mad_u64_u32 v[4:5], s[16:17], v4, v0, 0
	v_add3_u32 v5, v5, v7, v6
	v_mad_i64_i32 v[2:3], s[16:17], v0, s11, 0
	v_lshrrev_b64 v[4:5], 1, v[4:5]
	v_sub_co_u32_e32 v2, vcc, v2, v4
	v_subb_co_u32_e32 v3, vcc, v3, v5, vcc
	v_lshlrev_b64 v[2:3], 2, v[2:3]
	v_mov_b32_e32 v4, s10
	v_add_co_u32_e32 v2, vcc, s9, v2
	v_addc_co_u32_e32 v3, vcc, v4, v3, vcc
	global_load_dword v2, v[2:3], off
	s_waitcnt vmcnt(0)
	v_mul_f32_e32 v4, v8, v2
.LBB12_4:
	v_cmp_lt_i32_e32 vcc, 0, v0
	s_and_saveexec_b64 s[16:17], vcc
	s_cbranch_execz .LBB12_8
; %bb.5:
	s_ashr_i32 s23, s11, 31
	s_add_u32 s18, s18, s20
	s_mov_b32 s22, s11
	v_lshlrev_b64 v[2:3], 2, v[0:1]
	s_addc_u32 s19, s19, s21
	v_mov_b32_e32 v5, s19
	v_add_co_u32_e32 v2, vcc, s18, v2
	s_lshl_b64 s[18:19], s[22:23], 2
	s_add_u32 s28, s18, -4
	s_addc_u32 s22, s19, -1
	v_addc_co_u32_e32 v3, vcc, v5, v3, vcc
	s_lshl_b64 s[20:21], s[6:7], 2
	s_mov_b64 s[18:19], 0
	v_mov_b32_e32 v5, s22
	s_mov_b64 s[22:23], 0
	s_mov_b64 s[26:27], 0
	;; [unrolled: 1-line block ×3, first 2 shown]
.LBB12_6:                               ; =>This Inner Loop Header: Depth=1
	s_lshl_b64 s[30:31], s[22:23], 1
	s_and_b32 s29, s30, -4
	v_mov_b32_e32 v7, s31
	v_subrev_co_u32_e32 v6, vcc, s29, v2
	v_subb_co_u32_e32 v7, vcc, v3, v7, vcc
	global_load_dword v6, v[6:7], off
	s_add_u32 s24, s24, 1
	s_addc_u32 s25, s25, 0
	s_add_u32 s30, s26, 2
	s_load_dword s29, s[14:15], 0x0
	s_addc_u32 s31, s27, 0
	s_add_u32 s22, s22, s26
	v_add_co_u32_e32 v2, vcc, s28, v2
	s_addc_u32 s23, s23, s27
	v_addc_co_u32_e32 v3, vcc, v3, v5, vcc
	s_add_u32 s14, s14, s20
	v_cmp_eq_u32_e32 vcc, s24, v0
	s_addc_u32 s15, s15, s21
	s_mov_b64 s[26:27], s[30:31]
	s_or_b64 s[18:19], vcc, s[18:19]
	s_waitcnt vmcnt(0) lgkmcnt(0)
	v_fmac_f32_e32 v4, s29, v6
	s_andn2_b64 exec, exec, s[18:19]
	s_cbranch_execnz .LBB12_6
; %bb.7:
	s_or_b64 exec, exec, s[18:19]
.LBB12_8:
	s_or_b64 exec, exec, s[16:17]
	s_branch .LBB12_17
.LBB12_9:
                                        ; implicit-def: $vgpr4
	s_and_b64 vcc, exec, s[16:17]
	s_cbranch_vccz .LBB12_17
; %bb.10:
	s_and_b64 vcc, exec, s[0:1]
	v_add_u32_e32 v2, 1, v0
	s_cbranch_vccnz .LBB12_12
; %bb.11:
	v_mad_i64_i32 v[4:5], s[0:1], v2, v0, 0
	v_lshlrev_b64 v[4:5], 1, v[4:5]
	v_and_b32_e32 v3, -4, v4
	v_mov_b32_e32 v4, s10
	v_add_co_u32_e32 v3, vcc, s9, v3
	v_addc_co_u32_e32 v6, vcc, v4, v5, vcc
	v_lshlrev_b64 v[4:5], 2, v[0:1]
	v_add_co_u32_e32 v4, vcc, v3, v4
	v_addc_co_u32_e32 v5, vcc, v6, v5, vcc
	global_load_dword v3, v[4:5], off
	s_waitcnt vmcnt(0)
	v_mul_f32_e32 v8, v8, v3
.LBB12_12:
	v_cmp_gt_i32_e32 vcc, s11, v2
	s_and_saveexec_b64 s[0:1], vcc
	s_cbranch_execz .LBB12_16
; %bb.13:
	v_lshlrev_b64 v[4:5], 2, v[0:1]
	v_mov_b32_e32 v3, s10
	v_add_co_u32_e32 v9, vcc, s9, v4
	v_addc_co_u32_e32 v10, vcc, v3, v5, vcc
	v_ashrrev_i32_e32 v3, 31, v2
	v_mul_lo_u32 v11, s7, v2
	v_mul_lo_u32 v12, s6, v3
	v_mad_u64_u32 v[6:7], s[14:15], s6, v2, 0
	v_add3_u32 v7, v7, v12, v11
	s_add_u32 s2, s2, s12
	v_lshlrev_b64 v[6:7], 2, v[6:7]
	s_addc_u32 s3, s3, s13
	v_add_u32_e32 v4, 2, v0
	v_mov_b32_e32 v11, s3
	v_add_co_u32_e32 v6, vcc, s2, v6
	s_lshl_b64 s[6:7], s[6:7], 2
	v_ashrrev_i32_e32 v5, 31, v4
	v_addc_co_u32_e32 v7, vcc, v11, v7, vcc
	s_mov_b64 s[2:3], 0
	v_mov_b32_e32 v11, s7
.LBB12_14:                              ; =>This Inner Loop Header: Depth=1
	v_mul_lo_u32 v14, v5, v2
	v_mul_lo_u32 v15, v4, v3
	v_mad_u64_u32 v[12:13], s[12:13], v4, v2, 0
	v_add3_u32 v13, v13, v15, v14
	v_lshlrev_b64 v[12:13], 1, v[12:13]
	v_and_b32_e32 v12, -4, v12
	v_add_co_u32_e32 v12, vcc, v9, v12
	v_addc_co_u32_e32 v13, vcc, v10, v13, vcc
	global_load_dword v16, v[6:7], off
	v_add_co_u32_e32 v2, vcc, 1, v2
	global_load_dword v12, v[12:13], off
	v_addc_co_u32_e32 v3, vcc, 0, v3, vcc
	v_add_co_u32_e32 v4, vcc, 1, v4
	v_addc_co_u32_e32 v5, vcc, 0, v5, vcc
	v_add_co_u32_e32 v6, vcc, s6, v6
	v_addc_co_u32_e32 v7, vcc, v7, v11, vcc
	v_cmp_le_i32_e32 vcc, s11, v2
	s_or_b64 s[2:3], vcc, s[2:3]
	s_waitcnt vmcnt(0)
	v_fmac_f32_e32 v8, v12, v16
	s_andn2_b64 exec, exec, s[2:3]
	s_cbranch_execnz .LBB12_14
; %bb.15:
	s_or_b64 exec, exec, s[2:3]
.LBB12_16:
	s_or_b64 exec, exec, s[0:1]
	s_waitcnt vmcnt(0)
	v_mov_b32_e32 v4, v8
.LBB12_17:
	s_load_dwordx4 s[0:3], s[4:5], 0x40
	v_lshlrev_b64 v[0:1], 2, v[0:1]
	s_waitcnt lgkmcnt(0)
	s_mul_i32 s3, s8, s3
	s_mul_hi_u32 s4, s8, s2
	s_mul_i32 s2, s8, s2
	s_add_i32 s3, s4, s3
	s_lshl_b64 s[2:3], s[2:3], 2
	s_add_u32 s0, s0, s2
	s_addc_u32 s1, s1, s3
	v_mov_b32_e32 v2, s1
	v_add_co_u32_e32 v0, vcc, s0, v0
	v_addc_co_u32_e32 v1, vcc, v2, v1, vcc
	global_store_dword v[0:1], v4, off
.LBB12_18:
	s_endpgm
	.section	.rodata,"a",@progbits
	.p2align	6, 0x0
	.amdhsa_kernel _ZL20rocblas_tpmvn_kernelILi512EPKPKfPKPfS4_EvbbiT0_llT1_lllT2_li
		.amdhsa_group_segment_fixed_size 0
		.amdhsa_private_segment_fixed_size 0
		.amdhsa_kernarg_size 344
		.amdhsa_user_sgpr_count 6
		.amdhsa_user_sgpr_private_segment_buffer 1
		.amdhsa_user_sgpr_dispatch_ptr 0
		.amdhsa_user_sgpr_queue_ptr 0
		.amdhsa_user_sgpr_kernarg_segment_ptr 1
		.amdhsa_user_sgpr_dispatch_id 0
		.amdhsa_user_sgpr_flat_scratch_init 0
		.amdhsa_user_sgpr_kernarg_preload_length 0
		.amdhsa_user_sgpr_kernarg_preload_offset 0
		.amdhsa_user_sgpr_private_segment_size 0
		.amdhsa_uses_dynamic_stack 0
		.amdhsa_system_sgpr_private_segment_wavefront_offset 0
		.amdhsa_system_sgpr_workgroup_id_x 1
		.amdhsa_system_sgpr_workgroup_id_y 0
		.amdhsa_system_sgpr_workgroup_id_z 1
		.amdhsa_system_sgpr_workgroup_info 0
		.amdhsa_system_vgpr_workitem_id 0
		.amdhsa_next_free_vgpr 17
		.amdhsa_next_free_sgpr 32
		.amdhsa_accum_offset 20
		.amdhsa_reserve_vcc 1
		.amdhsa_reserve_flat_scratch 0
		.amdhsa_float_round_mode_32 0
		.amdhsa_float_round_mode_16_64 0
		.amdhsa_float_denorm_mode_32 3
		.amdhsa_float_denorm_mode_16_64 3
		.amdhsa_dx10_clamp 1
		.amdhsa_ieee_mode 1
		.amdhsa_fp16_overflow 0
		.amdhsa_tg_split 0
		.amdhsa_exception_fp_ieee_invalid_op 0
		.amdhsa_exception_fp_denorm_src 0
		.amdhsa_exception_fp_ieee_div_zero 0
		.amdhsa_exception_fp_ieee_overflow 0
		.amdhsa_exception_fp_ieee_underflow 0
		.amdhsa_exception_fp_ieee_inexact 0
		.amdhsa_exception_int_div_zero 0
	.end_amdhsa_kernel
	.section	.text._ZL20rocblas_tpmvn_kernelILi512EPKPKfPKPfS4_EvbbiT0_llT1_lllT2_li,"axG",@progbits,_ZL20rocblas_tpmvn_kernelILi512EPKPKfPKPfS4_EvbbiT0_llT1_lllT2_li,comdat
.Lfunc_end12:
	.size	_ZL20rocblas_tpmvn_kernelILi512EPKPKfPKPfS4_EvbbiT0_llT1_lllT2_li, .Lfunc_end12-_ZL20rocblas_tpmvn_kernelILi512EPKPKfPKPfS4_EvbbiT0_llT1_lllT2_li
                                        ; -- End function
	.section	.AMDGPU.csdata,"",@progbits
; Kernel info:
; codeLenInByte = 988
; NumSgprs: 36
; NumVgprs: 17
; NumAgprs: 0
; TotalNumVgprs: 17
; ScratchSize: 0
; MemoryBound: 0
; FloatMode: 240
; IeeeMode: 1
; LDSByteSize: 0 bytes/workgroup (compile time only)
; SGPRBlocks: 4
; VGPRBlocks: 2
; NumSGPRsForWavesPerEU: 36
; NumVGPRsForWavesPerEU: 17
; AccumOffset: 20
; Occupancy: 8
; WaveLimiterHint : 1
; COMPUTE_PGM_RSRC2:SCRATCH_EN: 0
; COMPUTE_PGM_RSRC2:USER_SGPR: 6
; COMPUTE_PGM_RSRC2:TRAP_HANDLER: 0
; COMPUTE_PGM_RSRC2:TGID_X_EN: 1
; COMPUTE_PGM_RSRC2:TGID_Y_EN: 0
; COMPUTE_PGM_RSRC2:TGID_Z_EN: 1
; COMPUTE_PGM_RSRC2:TIDIG_COMP_CNT: 0
; COMPUTE_PGM_RSRC3_GFX90A:ACCUM_OFFSET: 4
; COMPUTE_PGM_RSRC3_GFX90A:TG_SPLIT: 0
	.section	.text._ZL20rocblas_tpmvt_kernelILi512EPKPKfPKPfS4_EvbbiT0_llT1_lllT2_li,"axG",@progbits,_ZL20rocblas_tpmvt_kernelILi512EPKPKfPKPfS4_EvbbiT0_llT1_lllT2_li,comdat
	.globl	_ZL20rocblas_tpmvt_kernelILi512EPKPKfPKPfS4_EvbbiT0_llT1_lllT2_li ; -- Begin function _ZL20rocblas_tpmvt_kernelILi512EPKPKfPKPfS4_EvbbiT0_llT1_lllT2_li
	.p2align	8
	.type	_ZL20rocblas_tpmvt_kernelILi512EPKPKfPKPfS4_EvbbiT0_llT1_lllT2_li,@function
_ZL20rocblas_tpmvt_kernelILi512EPKPKfPKPfS4_EvbbiT0_llT1_lllT2_li: ; @_ZL20rocblas_tpmvt_kernelILi512EPKPKfPKPfS4_EvbbiT0_llT1_lllT2_li
; %bb.0:
	s_load_dword s0, s[4:5], 0x64
	s_load_dwordx2 s[10:11], s[4:5], 0x0
	s_waitcnt lgkmcnt(0)
	s_and_b32 s0, s0, 0xffff
	s_mul_i32 s6, s6, s0
	v_add_u32_e32 v0, s6, v0
	v_cmp_gt_i32_e32 vcc, s11, v0
	s_and_saveexec_b64 s[0:1], vcc
	s_cbranch_execz .LBB13_18
; %bb.1:
	s_mov_b32 s8, s7
	s_load_dword s12, s[4:5], 0x0
	s_load_dwordx4 s[0:3], s[4:5], 0x8
	s_load_dwordx2 s[6:7], s[4:5], 0x30
	s_mov_b32 s9, 0
	v_ashrrev_i32_e32 v1, 31, v0
	s_waitcnt lgkmcnt(0)
	s_and_b32 s26, s12, 1
	s_bitcmp1_b32 s10, 8
	s_cselect_b64 s[12:13], -1, 0
	s_lshl_b64 s[16:17], s[8:9], 3
	s_xor_b64 s[24:25], s[12:13], -1
	s_add_u32 s0, s0, s16
	s_addc_u32 s1, s1, s17
	s_load_dwordx2 s[12:13], s[0:1], 0x0
	s_load_dwordx4 s[20:23], s[4:5], 0x20
	s_lshl_b64 s[14:15], s[2:3], 2
	v_mul_lo_u32 v4, v0, s7
	v_mul_lo_u32 v5, v1, s6
	s_waitcnt lgkmcnt(0)
	s_add_u32 s9, s12, s14
	s_addc_u32 s10, s13, s15
	s_add_u32 s0, s20, s16
	s_addc_u32 s1, s21, s17
	s_load_dwordx2 s[18:19], s[0:1], 0x0
	v_mad_u64_u32 v[2:3], s[0:1], v0, s6, 0
	s_lshl_b64 s[20:21], s[22:23], 2
	v_add3_u32 v3, v3, v4, v5
	s_waitcnt lgkmcnt(0)
	s_add_u32 s2, s18, s20
	s_addc_u32 s3, s19, s21
	v_lshlrev_b64 v[2:3], 2, v[2:3]
	v_mov_b32_e32 v4, s3
	v_add_co_u32_e32 v2, vcc, s2, v2
	v_addc_co_u32_e32 v3, vcc, v4, v3, vcc
	global_load_dword v8, v[2:3], off
	v_cndmask_b32_e64 v2, 0, 1, s[24:25]
	s_mov_b64 s[16:17], -1
	s_cmp_eq_u32 s26, 0
	v_cmp_ne_u32_e64 s[0:1], 1, v2
	s_cbranch_scc0 .LBB13_9
; %bb.2:
	s_and_b64 vcc, exec, s[0:1]
	s_waitcnt vmcnt(0)
	v_mov_b32_e32 v9, v8
	s_cbranch_vccnz .LBB13_4
; %bb.3:
	v_add_co_u32_e32 v4, vcc, -1, v0
	v_addc_co_u32_e32 v5, vcc, -1, v1, vcc
	v_mul_lo_u32 v6, v5, v0
	v_mul_lo_u32 v7, v4, v1
	v_mad_u64_u32 v[4:5], s[16:17], v4, v0, 0
	v_add3_u32 v5, v5, v7, v6
	v_mad_i64_i32 v[2:3], s[16:17], v0, s11, 0
	v_lshrrev_b64 v[4:5], 1, v[4:5]
	v_sub_co_u32_e32 v2, vcc, v2, v4
	v_subb_co_u32_e32 v3, vcc, v3, v5, vcc
	v_lshlrev_b64 v[2:3], 2, v[2:3]
	v_mov_b32_e32 v4, s10
	v_add_co_u32_e32 v2, vcc, s9, v2
	v_addc_co_u32_e32 v3, vcc, v4, v3, vcc
	global_load_dword v2, v[2:3], off
	s_waitcnt vmcnt(0)
	v_mul_f32_e32 v9, v8, v2
.LBB13_4:
	v_add_u32_e32 v2, 1, v0
	v_cmp_gt_i32_e32 vcc, s11, v2
	s_and_saveexec_b64 s[16:17], vcc
	s_cbranch_execz .LBB13_8
; %bb.5:
	v_add_co_u32_e32 v3, vcc, -1, v0
	v_addc_co_u32_e32 v4, vcc, -1, v1, vcc
	v_mul_lo_u32 v4, v4, v0
	v_mul_lo_u32 v5, v3, v1
	v_mad_u64_u32 v[6:7], s[24:25], v3, v0, 0
	v_ashrrev_i32_e32 v3, 31, v2
	s_ashr_i32 s23, s11, 31
	v_add3_u32 v7, v7, v5, v4
	v_mul_lo_u32 v10, s7, v2
	v_mul_lo_u32 v11, s6, v3
	v_mad_u64_u32 v[4:5], s[24:25], s6, v2, 0
	v_add3_u32 v5, v5, v11, v10
	s_add_u32 s18, s18, s20
	s_mov_b32 s22, s11
	v_lshlrev_b64 v[4:5], 2, v[4:5]
	s_addc_u32 s19, s19, s21
	v_mov_b32_e32 v10, s19
	v_add_co_u32_e32 v4, vcc, s18, v4
	s_lshl_b64 s[18:19], s[6:7], 2
	s_lshl_b64 s[20:21], s[22:23], 2
	s_add_u32 s20, s20, -4
	v_addc_co_u32_e32 v5, vcc, v10, v5, vcc
	s_addc_u32 s21, s21, -1
	v_pk_mov_b32 v[10:11], s[14:15], s[14:15] op_sel:[0,1]
	v_mad_u64_u32 v[10:11], s[14:15], s20, v0, v[10:11]
	v_mul_lo_u32 v12, s20, v1
	v_mul_lo_u32 v13, s21, v0
	v_add3_u32 v11, v13, v11, v12
	v_lshlrev_b64 v[12:13], 2, v[2:3]
	v_add_co_u32_e32 v3, vcc, v10, v12
	v_lshlrev_b64 v[6:7], 1, v[6:7]
	v_addc_co_u32_e32 v10, vcc, v11, v13, vcc
	v_and_b32_e32 v6, -4, v6
	v_sub_co_u32_e32 v3, vcc, v3, v6
	v_subb_co_u32_e32 v7, vcc, v10, v7, vcc
	v_mov_b32_e32 v10, s13
	v_add_co_u32_e32 v6, vcc, s12, v3
	v_addc_co_u32_e32 v7, vcc, v10, v7, vcc
	s_mov_b64 s[12:13], 0
	v_mov_b32_e32 v3, s19
.LBB13_6:                               ; =>This Inner Loop Header: Depth=1
	global_load_dword v10, v[6:7], off
	global_load_dword v11, v[4:5], off
	v_add_co_u32_e32 v4, vcc, s18, v4
	v_addc_co_u32_e32 v5, vcc, v5, v3, vcc
	v_add_co_u32_e32 v6, vcc, 4, v6
	v_add_u32_e32 v2, 1, v2
	v_addc_co_u32_e32 v7, vcc, 0, v7, vcc
	v_cmp_le_i32_e32 vcc, s11, v2
	s_or_b64 s[12:13], vcc, s[12:13]
	s_waitcnt vmcnt(0)
	v_fmac_f32_e32 v9, v10, v11
	s_andn2_b64 exec, exec, s[12:13]
	s_cbranch_execnz .LBB13_6
; %bb.7:
	s_or_b64 exec, exec, s[12:13]
.LBB13_8:
	s_or_b64 exec, exec, s[16:17]
	s_branch .LBB13_17
.LBB13_9:
                                        ; implicit-def: $vgpr9
	s_and_b64 vcc, exec, s[16:17]
	s_cbranch_vccz .LBB13_17
; %bb.10:
	s_and_b64 vcc, exec, s[0:1]
	v_add_u32_e32 v2, 1, v0
	s_cbranch_vccnz .LBB13_12
; %bb.11:
	v_mad_i64_i32 v[4:5], s[0:1], v2, v0, 0
	v_lshlrev_b64 v[4:5], 1, v[4:5]
	v_and_b32_e32 v3, -4, v4
	v_mov_b32_e32 v4, s10
	v_add_co_u32_e32 v3, vcc, s9, v3
	v_addc_co_u32_e32 v6, vcc, v4, v5, vcc
	v_lshlrev_b64 v[4:5], 2, v[0:1]
	v_add_co_u32_e32 v4, vcc, v3, v4
	v_addc_co_u32_e32 v5, vcc, v6, v5, vcc
	global_load_dword v3, v[4:5], off
	s_waitcnt vmcnt(0)
	v_mul_f32_e32 v8, v8, v3
.LBB13_12:
	v_cmp_lt_i32_e32 vcc, 0, v0
	s_and_saveexec_b64 s[0:1], vcc
	s_cbranch_execz .LBB13_16
; %bb.13:
	v_mad_u64_u32 v[4:5], s[12:13], v2, v0, 0
	v_mov_b32_e32 v6, v5
	v_mad_u64_u32 v[2:3], s[12:13], v2, v1, v[6:7]
	v_mov_b32_e32 v5, v2
	v_lshlrev_b64 v[2:3], 1, v[4:5]
	v_and_b32_e32 v2, -4, v2
	v_mov_b32_e32 v4, s10
	v_add_co_u32_e32 v2, vcc, s9, v2
	v_addc_co_u32_e32 v3, vcc, v4, v3, vcc
	s_lshl_b64 s[10:11], s[6:7], 2
	s_mov_b64 s[6:7], 0
	v_mov_b32_e32 v4, v0
.LBB13_14:                              ; =>This Inner Loop Header: Depth=1
	global_load_dword v5, v[2:3], off
	s_load_dword s9, s[2:3], 0x0
	v_add_co_u32_e32 v2, vcc, 4, v2
	v_add_u32_e32 v4, -1, v4
	v_addc_co_u32_e32 v3, vcc, 0, v3, vcc
	s_add_u32 s2, s2, s10
	s_addc_u32 s3, s3, s11
	v_cmp_eq_u32_e32 vcc, 0, v4
	s_or_b64 s[6:7], vcc, s[6:7]
	s_waitcnt vmcnt(0) lgkmcnt(0)
	v_fmac_f32_e32 v8, s9, v5
	s_andn2_b64 exec, exec, s[6:7]
	s_cbranch_execnz .LBB13_14
; %bb.15:
	s_or_b64 exec, exec, s[6:7]
.LBB13_16:
	s_or_b64 exec, exec, s[0:1]
	s_waitcnt vmcnt(0)
	v_mov_b32_e32 v9, v8
.LBB13_17:
	s_load_dwordx4 s[0:3], s[4:5], 0x40
	v_lshlrev_b64 v[0:1], 2, v[0:1]
	s_waitcnt lgkmcnt(0)
	s_mul_i32 s3, s8, s3
	s_mul_hi_u32 s4, s8, s2
	s_mul_i32 s2, s8, s2
	s_add_i32 s3, s4, s3
	s_lshl_b64 s[2:3], s[2:3], 2
	s_add_u32 s0, s0, s2
	s_addc_u32 s1, s1, s3
	v_mov_b32_e32 v2, s1
	v_add_co_u32_e32 v0, vcc, s0, v0
	v_addc_co_u32_e32 v1, vcc, v2, v1, vcc
	global_store_dword v[0:1], v9, off
.LBB13_18:
	s_endpgm
	.section	.rodata,"a",@progbits
	.p2align	6, 0x0
	.amdhsa_kernel _ZL20rocblas_tpmvt_kernelILi512EPKPKfPKPfS4_EvbbiT0_llT1_lllT2_li
		.amdhsa_group_segment_fixed_size 0
		.amdhsa_private_segment_fixed_size 0
		.amdhsa_kernarg_size 344
		.amdhsa_user_sgpr_count 6
		.amdhsa_user_sgpr_private_segment_buffer 1
		.amdhsa_user_sgpr_dispatch_ptr 0
		.amdhsa_user_sgpr_queue_ptr 0
		.amdhsa_user_sgpr_kernarg_segment_ptr 1
		.amdhsa_user_sgpr_dispatch_id 0
		.amdhsa_user_sgpr_flat_scratch_init 0
		.amdhsa_user_sgpr_kernarg_preload_length 0
		.amdhsa_user_sgpr_kernarg_preload_offset 0
		.amdhsa_user_sgpr_private_segment_size 0
		.amdhsa_uses_dynamic_stack 0
		.amdhsa_system_sgpr_private_segment_wavefront_offset 0
		.amdhsa_system_sgpr_workgroup_id_x 1
		.amdhsa_system_sgpr_workgroup_id_y 0
		.amdhsa_system_sgpr_workgroup_id_z 1
		.amdhsa_system_sgpr_workgroup_info 0
		.amdhsa_system_vgpr_workitem_id 0
		.amdhsa_next_free_vgpr 14
		.amdhsa_next_free_sgpr 27
		.amdhsa_accum_offset 16
		.amdhsa_reserve_vcc 1
		.amdhsa_reserve_flat_scratch 0
		.amdhsa_float_round_mode_32 0
		.amdhsa_float_round_mode_16_64 0
		.amdhsa_float_denorm_mode_32 3
		.amdhsa_float_denorm_mode_16_64 3
		.amdhsa_dx10_clamp 1
		.amdhsa_ieee_mode 1
		.amdhsa_fp16_overflow 0
		.amdhsa_tg_split 0
		.amdhsa_exception_fp_ieee_invalid_op 0
		.amdhsa_exception_fp_denorm_src 0
		.amdhsa_exception_fp_ieee_div_zero 0
		.amdhsa_exception_fp_ieee_overflow 0
		.amdhsa_exception_fp_ieee_underflow 0
		.amdhsa_exception_fp_ieee_inexact 0
		.amdhsa_exception_int_div_zero 0
	.end_amdhsa_kernel
	.section	.text._ZL20rocblas_tpmvt_kernelILi512EPKPKfPKPfS4_EvbbiT0_llT1_lllT2_li,"axG",@progbits,_ZL20rocblas_tpmvt_kernelILi512EPKPKfPKPfS4_EvbbiT0_llT1_lllT2_li,comdat
.Lfunc_end13:
	.size	_ZL20rocblas_tpmvt_kernelILi512EPKPKfPKPfS4_EvbbiT0_llT1_lllT2_li, .Lfunc_end13-_ZL20rocblas_tpmvt_kernelILi512EPKPKfPKPfS4_EvbbiT0_llT1_lllT2_li
                                        ; -- End function
	.section	.AMDGPU.csdata,"",@progbits
; Kernel info:
; codeLenInByte = 1000
; NumSgprs: 31
; NumVgprs: 14
; NumAgprs: 0
; TotalNumVgprs: 14
; ScratchSize: 0
; MemoryBound: 0
; FloatMode: 240
; IeeeMode: 1
; LDSByteSize: 0 bytes/workgroup (compile time only)
; SGPRBlocks: 3
; VGPRBlocks: 1
; NumSGPRsForWavesPerEU: 31
; NumVGPRsForWavesPerEU: 14
; AccumOffset: 16
; Occupancy: 8
; WaveLimiterHint : 1
; COMPUTE_PGM_RSRC2:SCRATCH_EN: 0
; COMPUTE_PGM_RSRC2:USER_SGPR: 6
; COMPUTE_PGM_RSRC2:TRAP_HANDLER: 0
; COMPUTE_PGM_RSRC2:TGID_X_EN: 1
; COMPUTE_PGM_RSRC2:TGID_Y_EN: 0
; COMPUTE_PGM_RSRC2:TGID_Z_EN: 1
; COMPUTE_PGM_RSRC2:TIDIG_COMP_CNT: 0
; COMPUTE_PGM_RSRC3_GFX90A:ACCUM_OFFSET: 3
; COMPUTE_PGM_RSRC3_GFX90A:TG_SPLIT: 0
	.section	.text._ZL20rocblas_tpmvc_kernelILi512EPKPKfPKPfS4_EvbbiT0_llT1_lllT2_li,"axG",@progbits,_ZL20rocblas_tpmvc_kernelILi512EPKPKfPKPfS4_EvbbiT0_llT1_lllT2_li,comdat
	.globl	_ZL20rocblas_tpmvc_kernelILi512EPKPKfPKPfS4_EvbbiT0_llT1_lllT2_li ; -- Begin function _ZL20rocblas_tpmvc_kernelILi512EPKPKfPKPfS4_EvbbiT0_llT1_lllT2_li
	.p2align	8
	.type	_ZL20rocblas_tpmvc_kernelILi512EPKPKfPKPfS4_EvbbiT0_llT1_lllT2_li,@function
_ZL20rocblas_tpmvc_kernelILi512EPKPKfPKPfS4_EvbbiT0_llT1_lllT2_li: ; @_ZL20rocblas_tpmvc_kernelILi512EPKPKfPKPfS4_EvbbiT0_llT1_lllT2_li
; %bb.0:
	s_load_dword s0, s[4:5], 0x64
	s_load_dwordx2 s[10:11], s[4:5], 0x0
	s_waitcnt lgkmcnt(0)
	s_and_b32 s0, s0, 0xffff
	s_mul_i32 s6, s6, s0
	v_add_u32_e32 v0, s6, v0
	v_cmp_gt_i32_e32 vcc, s11, v0
	s_and_saveexec_b64 s[0:1], vcc
	s_cbranch_execz .LBB14_18
; %bb.1:
	s_mov_b32 s8, s7
	s_load_dword s12, s[4:5], 0x0
	s_load_dwordx4 s[0:3], s[4:5], 0x8
	s_load_dwordx2 s[6:7], s[4:5], 0x30
	s_mov_b32 s9, 0
	v_ashrrev_i32_e32 v1, 31, v0
	s_waitcnt lgkmcnt(0)
	s_and_b32 s26, s12, 1
	s_bitcmp1_b32 s10, 8
	s_cselect_b64 s[12:13], -1, 0
	s_lshl_b64 s[16:17], s[8:9], 3
	s_xor_b64 s[24:25], s[12:13], -1
	s_add_u32 s0, s0, s16
	s_addc_u32 s1, s1, s17
	s_load_dwordx2 s[12:13], s[0:1], 0x0
	s_load_dwordx4 s[20:23], s[4:5], 0x20
	s_lshl_b64 s[14:15], s[2:3], 2
	v_mul_lo_u32 v4, v0, s7
	v_mul_lo_u32 v5, v1, s6
	s_waitcnt lgkmcnt(0)
	s_add_u32 s9, s12, s14
	s_addc_u32 s10, s13, s15
	s_add_u32 s0, s20, s16
	s_addc_u32 s1, s21, s17
	s_load_dwordx2 s[18:19], s[0:1], 0x0
	v_mad_u64_u32 v[2:3], s[0:1], v0, s6, 0
	s_lshl_b64 s[20:21], s[22:23], 2
	v_add3_u32 v3, v3, v4, v5
	s_waitcnt lgkmcnt(0)
	s_add_u32 s2, s18, s20
	s_addc_u32 s3, s19, s21
	v_lshlrev_b64 v[2:3], 2, v[2:3]
	v_mov_b32_e32 v4, s3
	v_add_co_u32_e32 v2, vcc, s2, v2
	v_addc_co_u32_e32 v3, vcc, v4, v3, vcc
	global_load_dword v8, v[2:3], off
	v_cndmask_b32_e64 v2, 0, 1, s[24:25]
	s_mov_b64 s[16:17], -1
	s_cmp_eq_u32 s26, 0
	v_cmp_ne_u32_e64 s[0:1], 1, v2
	s_cbranch_scc0 .LBB14_9
; %bb.2:
	s_and_b64 vcc, exec, s[0:1]
	s_waitcnt vmcnt(0)
	v_mov_b32_e32 v9, v8
	s_cbranch_vccnz .LBB14_4
; %bb.3:
	v_add_co_u32_e32 v4, vcc, -1, v0
	v_addc_co_u32_e32 v5, vcc, -1, v1, vcc
	v_mul_lo_u32 v6, v5, v0
	v_mul_lo_u32 v7, v4, v1
	v_mad_u64_u32 v[4:5], s[16:17], v4, v0, 0
	v_add3_u32 v5, v5, v7, v6
	v_mad_i64_i32 v[2:3], s[16:17], v0, s11, 0
	v_lshrrev_b64 v[4:5], 1, v[4:5]
	v_sub_co_u32_e32 v2, vcc, v2, v4
	v_subb_co_u32_e32 v3, vcc, v3, v5, vcc
	v_lshlrev_b64 v[2:3], 2, v[2:3]
	v_mov_b32_e32 v4, s10
	v_add_co_u32_e32 v2, vcc, s9, v2
	v_addc_co_u32_e32 v3, vcc, v4, v3, vcc
	global_load_dword v2, v[2:3], off
	s_waitcnt vmcnt(0)
	v_mul_f32_e32 v9, v8, v2
.LBB14_4:
	v_add_u32_e32 v2, 1, v0
	v_cmp_gt_i32_e32 vcc, s11, v2
	s_and_saveexec_b64 s[16:17], vcc
	s_cbranch_execz .LBB14_8
; %bb.5:
	v_add_co_u32_e32 v3, vcc, -1, v0
	v_addc_co_u32_e32 v4, vcc, -1, v1, vcc
	v_mul_lo_u32 v4, v4, v0
	v_mul_lo_u32 v5, v3, v1
	v_mad_u64_u32 v[6:7], s[24:25], v3, v0, 0
	v_ashrrev_i32_e32 v3, 31, v2
	s_ashr_i32 s23, s11, 31
	v_add3_u32 v7, v7, v5, v4
	v_mul_lo_u32 v10, s7, v2
	v_mul_lo_u32 v11, s6, v3
	v_mad_u64_u32 v[4:5], s[24:25], s6, v2, 0
	v_add3_u32 v5, v5, v11, v10
	s_add_u32 s18, s18, s20
	s_mov_b32 s22, s11
	v_lshlrev_b64 v[4:5], 2, v[4:5]
	s_addc_u32 s19, s19, s21
	v_mov_b32_e32 v10, s19
	v_add_co_u32_e32 v4, vcc, s18, v4
	s_lshl_b64 s[18:19], s[6:7], 2
	s_lshl_b64 s[20:21], s[22:23], 2
	s_add_u32 s20, s20, -4
	v_addc_co_u32_e32 v5, vcc, v10, v5, vcc
	s_addc_u32 s21, s21, -1
	v_pk_mov_b32 v[10:11], s[14:15], s[14:15] op_sel:[0,1]
	v_mad_u64_u32 v[10:11], s[14:15], s20, v0, v[10:11]
	v_mul_lo_u32 v12, s20, v1
	v_mul_lo_u32 v13, s21, v0
	v_add3_u32 v11, v13, v11, v12
	v_lshlrev_b64 v[12:13], 2, v[2:3]
	v_add_co_u32_e32 v3, vcc, v10, v12
	v_lshlrev_b64 v[6:7], 1, v[6:7]
	v_addc_co_u32_e32 v10, vcc, v11, v13, vcc
	v_and_b32_e32 v6, -4, v6
	v_sub_co_u32_e32 v3, vcc, v3, v6
	v_subb_co_u32_e32 v7, vcc, v10, v7, vcc
	v_mov_b32_e32 v10, s13
	v_add_co_u32_e32 v6, vcc, s12, v3
	v_addc_co_u32_e32 v7, vcc, v10, v7, vcc
	s_mov_b64 s[12:13], 0
	v_mov_b32_e32 v3, s19
.LBB14_6:                               ; =>This Inner Loop Header: Depth=1
	global_load_dword v10, v[6:7], off
	global_load_dword v11, v[4:5], off
	v_add_co_u32_e32 v4, vcc, s18, v4
	v_addc_co_u32_e32 v5, vcc, v5, v3, vcc
	v_add_co_u32_e32 v6, vcc, 4, v6
	v_add_u32_e32 v2, 1, v2
	v_addc_co_u32_e32 v7, vcc, 0, v7, vcc
	v_cmp_le_i32_e32 vcc, s11, v2
	s_or_b64 s[12:13], vcc, s[12:13]
	s_waitcnt vmcnt(0)
	v_fmac_f32_e32 v9, v10, v11
	s_andn2_b64 exec, exec, s[12:13]
	s_cbranch_execnz .LBB14_6
; %bb.7:
	s_or_b64 exec, exec, s[12:13]
.LBB14_8:
	s_or_b64 exec, exec, s[16:17]
	s_branch .LBB14_17
.LBB14_9:
                                        ; implicit-def: $vgpr9
	s_and_b64 vcc, exec, s[16:17]
	s_cbranch_vccz .LBB14_17
; %bb.10:
	s_and_b64 vcc, exec, s[0:1]
	v_add_u32_e32 v2, 1, v0
	s_cbranch_vccnz .LBB14_12
; %bb.11:
	v_mad_i64_i32 v[4:5], s[0:1], v2, v0, 0
	v_lshlrev_b64 v[4:5], 1, v[4:5]
	v_and_b32_e32 v3, -4, v4
	v_mov_b32_e32 v4, s10
	v_add_co_u32_e32 v3, vcc, s9, v3
	v_addc_co_u32_e32 v6, vcc, v4, v5, vcc
	v_lshlrev_b64 v[4:5], 2, v[0:1]
	v_add_co_u32_e32 v4, vcc, v3, v4
	v_addc_co_u32_e32 v5, vcc, v6, v5, vcc
	global_load_dword v3, v[4:5], off
	s_waitcnt vmcnt(0)
	v_mul_f32_e32 v8, v8, v3
.LBB14_12:
	v_cmp_lt_i32_e32 vcc, 0, v0
	s_and_saveexec_b64 s[0:1], vcc
	s_cbranch_execz .LBB14_16
; %bb.13:
	v_mad_u64_u32 v[4:5], s[12:13], v2, v0, 0
	v_mov_b32_e32 v6, v5
	v_mad_u64_u32 v[2:3], s[12:13], v2, v1, v[6:7]
	v_mov_b32_e32 v5, v2
	v_lshlrev_b64 v[2:3], 1, v[4:5]
	v_and_b32_e32 v2, -4, v2
	v_mov_b32_e32 v4, s10
	v_add_co_u32_e32 v2, vcc, s9, v2
	v_addc_co_u32_e32 v3, vcc, v4, v3, vcc
	s_lshl_b64 s[10:11], s[6:7], 2
	s_mov_b64 s[6:7], 0
	v_mov_b32_e32 v4, v0
.LBB14_14:                              ; =>This Inner Loop Header: Depth=1
	global_load_dword v5, v[2:3], off
	s_load_dword s9, s[2:3], 0x0
	v_add_co_u32_e32 v2, vcc, 4, v2
	v_add_u32_e32 v4, -1, v4
	v_addc_co_u32_e32 v3, vcc, 0, v3, vcc
	s_add_u32 s2, s2, s10
	s_addc_u32 s3, s3, s11
	v_cmp_eq_u32_e32 vcc, 0, v4
	s_or_b64 s[6:7], vcc, s[6:7]
	s_waitcnt vmcnt(0) lgkmcnt(0)
	v_fmac_f32_e32 v8, s9, v5
	s_andn2_b64 exec, exec, s[6:7]
	s_cbranch_execnz .LBB14_14
; %bb.15:
	s_or_b64 exec, exec, s[6:7]
.LBB14_16:
	s_or_b64 exec, exec, s[0:1]
	s_waitcnt vmcnt(0)
	v_mov_b32_e32 v9, v8
.LBB14_17:
	s_load_dwordx4 s[0:3], s[4:5], 0x40
	v_lshlrev_b64 v[0:1], 2, v[0:1]
	s_waitcnt lgkmcnt(0)
	s_mul_i32 s3, s8, s3
	s_mul_hi_u32 s4, s8, s2
	s_mul_i32 s2, s8, s2
	s_add_i32 s3, s4, s3
	s_lshl_b64 s[2:3], s[2:3], 2
	s_add_u32 s0, s0, s2
	s_addc_u32 s1, s1, s3
	v_mov_b32_e32 v2, s1
	v_add_co_u32_e32 v0, vcc, s0, v0
	v_addc_co_u32_e32 v1, vcc, v2, v1, vcc
	global_store_dword v[0:1], v9, off
.LBB14_18:
	s_endpgm
	.section	.rodata,"a",@progbits
	.p2align	6, 0x0
	.amdhsa_kernel _ZL20rocblas_tpmvc_kernelILi512EPKPKfPKPfS4_EvbbiT0_llT1_lllT2_li
		.amdhsa_group_segment_fixed_size 0
		.amdhsa_private_segment_fixed_size 0
		.amdhsa_kernarg_size 344
		.amdhsa_user_sgpr_count 6
		.amdhsa_user_sgpr_private_segment_buffer 1
		.amdhsa_user_sgpr_dispatch_ptr 0
		.amdhsa_user_sgpr_queue_ptr 0
		.amdhsa_user_sgpr_kernarg_segment_ptr 1
		.amdhsa_user_sgpr_dispatch_id 0
		.amdhsa_user_sgpr_flat_scratch_init 0
		.amdhsa_user_sgpr_kernarg_preload_length 0
		.amdhsa_user_sgpr_kernarg_preload_offset 0
		.amdhsa_user_sgpr_private_segment_size 0
		.amdhsa_uses_dynamic_stack 0
		.amdhsa_system_sgpr_private_segment_wavefront_offset 0
		.amdhsa_system_sgpr_workgroup_id_x 1
		.amdhsa_system_sgpr_workgroup_id_y 0
		.amdhsa_system_sgpr_workgroup_id_z 1
		.amdhsa_system_sgpr_workgroup_info 0
		.amdhsa_system_vgpr_workitem_id 0
		.amdhsa_next_free_vgpr 14
		.amdhsa_next_free_sgpr 27
		.amdhsa_accum_offset 16
		.amdhsa_reserve_vcc 1
		.amdhsa_reserve_flat_scratch 0
		.amdhsa_float_round_mode_32 0
		.amdhsa_float_round_mode_16_64 0
		.amdhsa_float_denorm_mode_32 3
		.amdhsa_float_denorm_mode_16_64 3
		.amdhsa_dx10_clamp 1
		.amdhsa_ieee_mode 1
		.amdhsa_fp16_overflow 0
		.amdhsa_tg_split 0
		.amdhsa_exception_fp_ieee_invalid_op 0
		.amdhsa_exception_fp_denorm_src 0
		.amdhsa_exception_fp_ieee_div_zero 0
		.amdhsa_exception_fp_ieee_overflow 0
		.amdhsa_exception_fp_ieee_underflow 0
		.amdhsa_exception_fp_ieee_inexact 0
		.amdhsa_exception_int_div_zero 0
	.end_amdhsa_kernel
	.section	.text._ZL20rocblas_tpmvc_kernelILi512EPKPKfPKPfS4_EvbbiT0_llT1_lllT2_li,"axG",@progbits,_ZL20rocblas_tpmvc_kernelILi512EPKPKfPKPfS4_EvbbiT0_llT1_lllT2_li,comdat
.Lfunc_end14:
	.size	_ZL20rocblas_tpmvc_kernelILi512EPKPKfPKPfS4_EvbbiT0_llT1_lllT2_li, .Lfunc_end14-_ZL20rocblas_tpmvc_kernelILi512EPKPKfPKPfS4_EvbbiT0_llT1_lllT2_li
                                        ; -- End function
	.section	.AMDGPU.csdata,"",@progbits
; Kernel info:
; codeLenInByte = 1000
; NumSgprs: 31
; NumVgprs: 14
; NumAgprs: 0
; TotalNumVgprs: 14
; ScratchSize: 0
; MemoryBound: 0
; FloatMode: 240
; IeeeMode: 1
; LDSByteSize: 0 bytes/workgroup (compile time only)
; SGPRBlocks: 3
; VGPRBlocks: 1
; NumSGPRsForWavesPerEU: 31
; NumVGPRsForWavesPerEU: 14
; AccumOffset: 16
; Occupancy: 8
; WaveLimiterHint : 1
; COMPUTE_PGM_RSRC2:SCRATCH_EN: 0
; COMPUTE_PGM_RSRC2:USER_SGPR: 6
; COMPUTE_PGM_RSRC2:TRAP_HANDLER: 0
; COMPUTE_PGM_RSRC2:TGID_X_EN: 1
; COMPUTE_PGM_RSRC2:TGID_Y_EN: 0
; COMPUTE_PGM_RSRC2:TGID_Z_EN: 1
; COMPUTE_PGM_RSRC2:TIDIG_COMP_CNT: 0
; COMPUTE_PGM_RSRC3_GFX90A:ACCUM_OFFSET: 3
; COMPUTE_PGM_RSRC3_GFX90A:TG_SPLIT: 0
	.section	.text._ZL20rocblas_tpmvn_kernelILi512EPKPKdPKPdS4_EvbbiT0_llT1_lllT2_li,"axG",@progbits,_ZL20rocblas_tpmvn_kernelILi512EPKPKdPKPdS4_EvbbiT0_llT1_lllT2_li,comdat
	.globl	_ZL20rocblas_tpmvn_kernelILi512EPKPKdPKPdS4_EvbbiT0_llT1_lllT2_li ; -- Begin function _ZL20rocblas_tpmvn_kernelILi512EPKPKdPKPdS4_EvbbiT0_llT1_lllT2_li
	.p2align	8
	.type	_ZL20rocblas_tpmvn_kernelILi512EPKPKdPKPdS4_EvbbiT0_llT1_lllT2_li,@function
_ZL20rocblas_tpmvn_kernelILi512EPKPKdPKPdS4_EvbbiT0_llT1_lllT2_li: ; @_ZL20rocblas_tpmvn_kernelILi512EPKPKdPKPdS4_EvbbiT0_llT1_lllT2_li
; %bb.0:
	s_load_dword s0, s[4:5], 0x64
	s_load_dwordx2 s[10:11], s[4:5], 0x0
	s_waitcnt lgkmcnt(0)
	s_and_b32 s0, s0, 0xffff
	s_mul_i32 s6, s6, s0
	v_add_u32_e32 v0, s6, v0
	v_cmp_gt_i32_e32 vcc, s11, v0
	s_and_saveexec_b64 s[0:1], vcc
	s_cbranch_execz .LBB15_18
; %bb.1:
	s_mov_b32 s8, s7
	s_load_dword s12, s[4:5], 0x0
	s_load_dwordx4 s[0:3], s[4:5], 0x8
	s_load_dwordx2 s[6:7], s[4:5], 0x30
	s_mov_b32 s9, 0
	v_ashrrev_i32_e32 v1, 31, v0
	s_waitcnt lgkmcnt(0)
	s_and_b32 s24, s12, 1
	s_bitcmp1_b32 s10, 8
	s_cselect_b64 s[12:13], -1, 0
	s_lshl_b64 s[16:17], s[8:9], 3
	s_xor_b64 s[22:23], s[12:13], -1
	s_add_u32 s0, s0, s16
	s_addc_u32 s1, s1, s17
	s_load_dwordx2 s[18:19], s[0:1], 0x0
	s_load_dwordx4 s[12:15], s[4:5], 0x20
	s_lshl_b64 s[20:21], s[2:3], 3
	v_mul_lo_u32 v4, v0, s7
	v_mul_lo_u32 v5, v1, s6
	s_waitcnt lgkmcnt(0)
	s_add_u32 s9, s18, s20
	s_addc_u32 s10, s19, s21
	s_add_u32 s0, s12, s16
	s_addc_u32 s1, s13, s17
	s_load_dwordx2 s[2:3], s[0:1], 0x0
	v_mad_u64_u32 v[2:3], s[0:1], v0, s6, 0
	s_lshl_b64 s[12:13], s[14:15], 3
	v_add3_u32 v3, v3, v4, v5
	s_waitcnt lgkmcnt(0)
	s_add_u32 s14, s2, s12
	s_addc_u32 s15, s3, s13
	v_lshlrev_b64 v[2:3], 3, v[2:3]
	v_mov_b32_e32 v4, s15
	v_add_co_u32_e32 v2, vcc, s14, v2
	v_addc_co_u32_e32 v3, vcc, v4, v3, vcc
	global_load_dwordx2 v[2:3], v[2:3], off
	v_cndmask_b32_e64 v4, 0, 1, s[22:23]
	s_mov_b64 s[16:17], -1
	s_cmp_eq_u32 s24, 0
	v_cmp_ne_u32_e64 s[0:1], 1, v4
	s_cbranch_scc0 .LBB15_9
; %bb.2:
	s_and_b64 vcc, exec, s[0:1]
	s_waitcnt vmcnt(0)
	v_pk_mov_b32 v[4:5], v[2:3], v[2:3] op_sel:[0,1]
	s_cbranch_vccnz .LBB15_4
; %bb.3:
	v_add_co_u32_e32 v6, vcc, -1, v0
	v_addc_co_u32_e32 v7, vcc, -1, v1, vcc
	v_mul_lo_u32 v8, v7, v0
	v_mul_lo_u32 v9, v6, v1
	v_mad_u64_u32 v[6:7], s[16:17], v6, v0, 0
	v_add3_u32 v7, v7, v9, v8
	v_mad_i64_i32 v[4:5], s[16:17], v0, s11, 0
	v_lshrrev_b64 v[6:7], 1, v[6:7]
	v_sub_co_u32_e32 v4, vcc, v4, v6
	v_subb_co_u32_e32 v5, vcc, v5, v7, vcc
	v_lshlrev_b64 v[4:5], 3, v[4:5]
	v_mov_b32_e32 v6, s10
	v_add_co_u32_e32 v4, vcc, s9, v4
	v_addc_co_u32_e32 v5, vcc, v6, v5, vcc
	global_load_dwordx2 v[4:5], v[4:5], off
	s_waitcnt vmcnt(0)
	v_mul_f64 v[4:5], v[2:3], v[4:5]
.LBB15_4:
	v_cmp_lt_i32_e32 vcc, 0, v0
	s_and_saveexec_b64 s[16:17], vcc
	s_cbranch_execz .LBB15_8
; %bb.5:
	s_ashr_i32 s23, s11, 31
	s_add_u32 s18, s18, s20
	s_mov_b32 s22, s11
	v_lshlrev_b64 v[6:7], 3, v[0:1]
	s_addc_u32 s19, s19, s21
	v_mov_b32_e32 v8, s19
	v_add_co_u32_e32 v6, vcc, s18, v6
	s_lshl_b64 s[18:19], s[22:23], 3
	s_add_u32 s28, s18, -8
	s_addc_u32 s22, s19, -1
	v_addc_co_u32_e32 v7, vcc, v8, v7, vcc
	s_lshl_b64 s[20:21], s[6:7], 3
	s_mov_b64 s[18:19], 0
	v_mov_b32_e32 v8, s22
	s_mov_b64 s[22:23], 0
	s_mov_b64 s[26:27], 0
	;; [unrolled: 1-line block ×3, first 2 shown]
.LBB15_6:                               ; =>This Inner Loop Header: Depth=1
	s_lshl_b64 s[30:31], s[22:23], 2
	s_and_b32 s29, s30, -8
	v_mov_b32_e32 v9, s31
	v_subrev_co_u32_e32 v10, vcc, s29, v6
	v_subb_co_u32_e32 v11, vcc, v7, v9, vcc
	global_load_dwordx2 v[10:11], v[10:11], off
	s_add_u32 s24, s24, 1
	s_addc_u32 s25, s25, 0
	s_add_u32 s34, s26, 2
	s_load_dwordx2 s[30:31], s[14:15], 0x0
	s_addc_u32 s35, s27, 0
	s_add_u32 s22, s22, s26
	v_add_co_u32_e32 v6, vcc, s28, v6
	s_addc_u32 s23, s23, s27
	v_addc_co_u32_e32 v7, vcc, v7, v8, vcc
	s_add_u32 s14, s14, s20
	v_cmp_eq_u32_e32 vcc, s24, v0
	s_addc_u32 s15, s15, s21
	s_mov_b64 s[26:27], s[34:35]
	s_or_b64 s[18:19], vcc, s[18:19]
	s_waitcnt vmcnt(0) lgkmcnt(0)
	v_fmac_f64_e32 v[4:5], s[30:31], v[10:11]
	s_andn2_b64 exec, exec, s[18:19]
	s_cbranch_execnz .LBB15_6
; %bb.7:
	s_or_b64 exec, exec, s[18:19]
.LBB15_8:
	s_or_b64 exec, exec, s[16:17]
	s_branch .LBB15_17
.LBB15_9:
                                        ; implicit-def: $vgpr4_vgpr5
	s_and_b64 vcc, exec, s[16:17]
	s_cbranch_vccz .LBB15_17
; %bb.10:
	s_and_b64 vcc, exec, s[0:1]
	v_add_u32_e32 v4, 1, v0
	s_cbranch_vccnz .LBB15_12
; %bb.11:
	v_mad_i64_i32 v[6:7], s[0:1], v4, v0, 0
	v_lshlrev_b64 v[6:7], 2, v[6:7]
	v_and_b32_e32 v5, -8, v6
	v_mov_b32_e32 v6, s10
	v_add_co_u32_e32 v5, vcc, s9, v5
	v_addc_co_u32_e32 v8, vcc, v6, v7, vcc
	v_lshlrev_b64 v[6:7], 3, v[0:1]
	v_add_co_u32_e32 v6, vcc, v5, v6
	v_addc_co_u32_e32 v7, vcc, v8, v7, vcc
	global_load_dwordx2 v[6:7], v[6:7], off
	s_waitcnt vmcnt(0)
	v_mul_f64 v[2:3], v[2:3], v[6:7]
.LBB15_12:
	v_cmp_gt_i32_e32 vcc, s11, v4
	s_and_saveexec_b64 s[0:1], vcc
	s_cbranch_execz .LBB15_16
; %bb.13:
	v_lshlrev_b64 v[6:7], 3, v[0:1]
	v_mov_b32_e32 v5, s10
	v_add_co_u32_e32 v10, vcc, s9, v6
	v_addc_co_u32_e32 v11, vcc, v5, v7, vcc
	v_ashrrev_i32_e32 v5, 31, v4
	v_mul_lo_u32 v12, s7, v4
	v_mul_lo_u32 v13, s6, v5
	v_mad_u64_u32 v[8:9], s[14:15], s6, v4, 0
	v_add3_u32 v9, v9, v13, v12
	s_add_u32 s2, s2, s12
	v_lshlrev_b64 v[8:9], 3, v[8:9]
	s_addc_u32 s3, s3, s13
	v_add_u32_e32 v6, 2, v0
	v_mov_b32_e32 v12, s3
	v_add_co_u32_e32 v8, vcc, s2, v8
	s_lshl_b64 s[6:7], s[6:7], 3
	v_ashrrev_i32_e32 v7, 31, v6
	v_addc_co_u32_e32 v9, vcc, v12, v9, vcc
	s_mov_b64 s[2:3], 0
	v_mov_b32_e32 v12, s7
.LBB15_14:                              ; =>This Inner Loop Header: Depth=1
	v_mul_lo_u32 v13, v7, v4
	v_mul_lo_u32 v18, v6, v5
	v_mad_u64_u32 v[14:15], s[12:13], v6, v4, 0
	v_add3_u32 v15, v15, v18, v13
	v_lshlrev_b64 v[14:15], 2, v[14:15]
	v_and_b32_e32 v13, -8, v14
	v_add_co_u32_e32 v14, vcc, v10, v13
	v_addc_co_u32_e32 v15, vcc, v11, v15, vcc
	global_load_dwordx2 v[16:17], v[8:9], off
	v_add_co_u32_e32 v4, vcc, 1, v4
	global_load_dwordx2 v[14:15], v[14:15], off
	v_addc_co_u32_e32 v5, vcc, 0, v5, vcc
	v_add_co_u32_e32 v6, vcc, 1, v6
	v_addc_co_u32_e32 v7, vcc, 0, v7, vcc
	v_add_co_u32_e32 v8, vcc, s6, v8
	v_addc_co_u32_e32 v9, vcc, v9, v12, vcc
	v_cmp_le_i32_e32 vcc, s11, v4
	s_or_b64 s[2:3], vcc, s[2:3]
	s_waitcnt vmcnt(0)
	v_fmac_f64_e32 v[2:3], v[14:15], v[16:17]
	s_andn2_b64 exec, exec, s[2:3]
	s_cbranch_execnz .LBB15_14
; %bb.15:
	s_or_b64 exec, exec, s[2:3]
.LBB15_16:
	s_or_b64 exec, exec, s[0:1]
	s_waitcnt vmcnt(0)
	v_pk_mov_b32 v[4:5], v[2:3], v[2:3] op_sel:[0,1]
.LBB15_17:
	s_load_dwordx4 s[0:3], s[4:5], 0x40
	v_lshlrev_b64 v[0:1], 3, v[0:1]
	s_waitcnt lgkmcnt(0)
	s_mul_i32 s3, s8, s3
	s_mul_hi_u32 s4, s8, s2
	s_mul_i32 s2, s8, s2
	s_add_i32 s3, s4, s3
	s_lshl_b64 s[2:3], s[2:3], 3
	s_add_u32 s0, s0, s2
	s_addc_u32 s1, s1, s3
	s_waitcnt vmcnt(0)
	v_mov_b32_e32 v2, s1
	v_add_co_u32_e32 v0, vcc, s0, v0
	v_addc_co_u32_e32 v1, vcc, v2, v1, vcc
	global_store_dwordx2 v[0:1], v[4:5], off
.LBB15_18:
	s_endpgm
	.section	.rodata,"a",@progbits
	.p2align	6, 0x0
	.amdhsa_kernel _ZL20rocblas_tpmvn_kernelILi512EPKPKdPKPdS4_EvbbiT0_llT1_lllT2_li
		.amdhsa_group_segment_fixed_size 0
		.amdhsa_private_segment_fixed_size 0
		.amdhsa_kernarg_size 344
		.amdhsa_user_sgpr_count 6
		.amdhsa_user_sgpr_private_segment_buffer 1
		.amdhsa_user_sgpr_dispatch_ptr 0
		.amdhsa_user_sgpr_queue_ptr 0
		.amdhsa_user_sgpr_kernarg_segment_ptr 1
		.amdhsa_user_sgpr_dispatch_id 0
		.amdhsa_user_sgpr_flat_scratch_init 0
		.amdhsa_user_sgpr_kernarg_preload_length 0
		.amdhsa_user_sgpr_kernarg_preload_offset 0
		.amdhsa_user_sgpr_private_segment_size 0
		.amdhsa_uses_dynamic_stack 0
		.amdhsa_system_sgpr_private_segment_wavefront_offset 0
		.amdhsa_system_sgpr_workgroup_id_x 1
		.amdhsa_system_sgpr_workgroup_id_y 0
		.amdhsa_system_sgpr_workgroup_id_z 1
		.amdhsa_system_sgpr_workgroup_info 0
		.amdhsa_system_vgpr_workitem_id 0
		.amdhsa_next_free_vgpr 19
		.amdhsa_next_free_sgpr 36
		.amdhsa_accum_offset 20
		.amdhsa_reserve_vcc 1
		.amdhsa_reserve_flat_scratch 0
		.amdhsa_float_round_mode_32 0
		.amdhsa_float_round_mode_16_64 0
		.amdhsa_float_denorm_mode_32 3
		.amdhsa_float_denorm_mode_16_64 3
		.amdhsa_dx10_clamp 1
		.amdhsa_ieee_mode 1
		.amdhsa_fp16_overflow 0
		.amdhsa_tg_split 0
		.amdhsa_exception_fp_ieee_invalid_op 0
		.amdhsa_exception_fp_denorm_src 0
		.amdhsa_exception_fp_ieee_div_zero 0
		.amdhsa_exception_fp_ieee_overflow 0
		.amdhsa_exception_fp_ieee_underflow 0
		.amdhsa_exception_fp_ieee_inexact 0
		.amdhsa_exception_int_div_zero 0
	.end_amdhsa_kernel
	.section	.text._ZL20rocblas_tpmvn_kernelILi512EPKPKdPKPdS4_EvbbiT0_llT1_lllT2_li,"axG",@progbits,_ZL20rocblas_tpmvn_kernelILi512EPKPKdPKPdS4_EvbbiT0_llT1_lllT2_li,comdat
.Lfunc_end15:
	.size	_ZL20rocblas_tpmvn_kernelILi512EPKPKdPKPdS4_EvbbiT0_llT1_lllT2_li, .Lfunc_end15-_ZL20rocblas_tpmvn_kernelILi512EPKPKdPKPdS4_EvbbiT0_llT1_lllT2_li
                                        ; -- End function
	.section	.AMDGPU.csdata,"",@progbits
; Kernel info:
; codeLenInByte = 1008
; NumSgprs: 40
; NumVgprs: 19
; NumAgprs: 0
; TotalNumVgprs: 19
; ScratchSize: 0
; MemoryBound: 0
; FloatMode: 240
; IeeeMode: 1
; LDSByteSize: 0 bytes/workgroup (compile time only)
; SGPRBlocks: 4
; VGPRBlocks: 2
; NumSGPRsForWavesPerEU: 40
; NumVGPRsForWavesPerEU: 19
; AccumOffset: 20
; Occupancy: 8
; WaveLimiterHint : 1
; COMPUTE_PGM_RSRC2:SCRATCH_EN: 0
; COMPUTE_PGM_RSRC2:USER_SGPR: 6
; COMPUTE_PGM_RSRC2:TRAP_HANDLER: 0
; COMPUTE_PGM_RSRC2:TGID_X_EN: 1
; COMPUTE_PGM_RSRC2:TGID_Y_EN: 0
; COMPUTE_PGM_RSRC2:TGID_Z_EN: 1
; COMPUTE_PGM_RSRC2:TIDIG_COMP_CNT: 0
; COMPUTE_PGM_RSRC3_GFX90A:ACCUM_OFFSET: 4
; COMPUTE_PGM_RSRC3_GFX90A:TG_SPLIT: 0
	.section	.text._ZL20rocblas_tpmvt_kernelILi512EPKPKdPKPdS4_EvbbiT0_llT1_lllT2_li,"axG",@progbits,_ZL20rocblas_tpmvt_kernelILi512EPKPKdPKPdS4_EvbbiT0_llT1_lllT2_li,comdat
	.globl	_ZL20rocblas_tpmvt_kernelILi512EPKPKdPKPdS4_EvbbiT0_llT1_lllT2_li ; -- Begin function _ZL20rocblas_tpmvt_kernelILi512EPKPKdPKPdS4_EvbbiT0_llT1_lllT2_li
	.p2align	8
	.type	_ZL20rocblas_tpmvt_kernelILi512EPKPKdPKPdS4_EvbbiT0_llT1_lllT2_li,@function
_ZL20rocblas_tpmvt_kernelILi512EPKPKdPKPdS4_EvbbiT0_llT1_lllT2_li: ; @_ZL20rocblas_tpmvt_kernelILi512EPKPKdPKPdS4_EvbbiT0_llT1_lllT2_li
; %bb.0:
	s_load_dword s0, s[4:5], 0x64
	s_load_dwordx2 s[10:11], s[4:5], 0x0
	s_waitcnt lgkmcnt(0)
	s_and_b32 s0, s0, 0xffff
	s_mul_i32 s6, s6, s0
	v_add_u32_e32 v0, s6, v0
	v_cmp_gt_i32_e32 vcc, s11, v0
	s_and_saveexec_b64 s[0:1], vcc
	s_cbranch_execz .LBB16_18
; %bb.1:
	s_mov_b32 s8, s7
	s_load_dword s12, s[4:5], 0x0
	s_load_dwordx4 s[0:3], s[4:5], 0x8
	s_load_dwordx2 s[6:7], s[4:5], 0x30
	s_mov_b32 s9, 0
	v_ashrrev_i32_e32 v1, 31, v0
	s_waitcnt lgkmcnt(0)
	s_and_b32 s26, s12, 1
	s_bitcmp1_b32 s10, 8
	s_cselect_b64 s[12:13], -1, 0
	s_lshl_b64 s[16:17], s[8:9], 3
	s_xor_b64 s[24:25], s[12:13], -1
	s_add_u32 s0, s0, s16
	s_addc_u32 s1, s1, s17
	s_load_dwordx2 s[12:13], s[0:1], 0x0
	s_load_dwordx4 s[20:23], s[4:5], 0x20
	s_lshl_b64 s[14:15], s[2:3], 3
	v_mul_lo_u32 v4, v0, s7
	v_mul_lo_u32 v5, v1, s6
	s_waitcnt lgkmcnt(0)
	s_add_u32 s9, s12, s14
	s_addc_u32 s10, s13, s15
	s_add_u32 s0, s20, s16
	s_addc_u32 s1, s21, s17
	s_load_dwordx2 s[18:19], s[0:1], 0x0
	v_mad_u64_u32 v[2:3], s[0:1], v0, s6, 0
	s_lshl_b64 s[20:21], s[22:23], 3
	v_add3_u32 v3, v3, v4, v5
	s_waitcnt lgkmcnt(0)
	s_add_u32 s2, s18, s20
	s_addc_u32 s3, s19, s21
	v_lshlrev_b64 v[2:3], 3, v[2:3]
	v_mov_b32_e32 v4, s3
	v_add_co_u32_e32 v2, vcc, s2, v2
	v_addc_co_u32_e32 v3, vcc, v4, v3, vcc
	global_load_dwordx2 v[2:3], v[2:3], off
	v_cndmask_b32_e64 v4, 0, 1, s[24:25]
	s_mov_b64 s[16:17], -1
	s_cmp_eq_u32 s26, 0
	v_cmp_ne_u32_e64 s[0:1], 1, v4
	s_cbranch_scc0 .LBB16_9
; %bb.2:
	s_and_b64 vcc, exec, s[0:1]
	s_waitcnt vmcnt(0)
	v_pk_mov_b32 v[4:5], v[2:3], v[2:3] op_sel:[0,1]
	s_cbranch_vccnz .LBB16_4
; %bb.3:
	v_add_co_u32_e32 v6, vcc, -1, v0
	v_addc_co_u32_e32 v7, vcc, -1, v1, vcc
	v_mul_lo_u32 v8, v7, v0
	v_mul_lo_u32 v9, v6, v1
	v_mad_u64_u32 v[6:7], s[16:17], v6, v0, 0
	v_add3_u32 v7, v7, v9, v8
	v_mad_i64_i32 v[4:5], s[16:17], v0, s11, 0
	v_lshrrev_b64 v[6:7], 1, v[6:7]
	v_sub_co_u32_e32 v4, vcc, v4, v6
	v_subb_co_u32_e32 v5, vcc, v5, v7, vcc
	v_lshlrev_b64 v[4:5], 3, v[4:5]
	v_mov_b32_e32 v6, s10
	v_add_co_u32_e32 v4, vcc, s9, v4
	v_addc_co_u32_e32 v5, vcc, v6, v5, vcc
	global_load_dwordx2 v[4:5], v[4:5], off
	s_waitcnt vmcnt(0)
	v_mul_f64 v[4:5], v[2:3], v[4:5]
.LBB16_4:
	v_add_u32_e32 v6, 1, v0
	v_cmp_gt_i32_e32 vcc, s11, v6
	s_and_saveexec_b64 s[16:17], vcc
	s_cbranch_execz .LBB16_8
; %bb.5:
	v_add_co_u32_e32 v7, vcc, -1, v0
	v_addc_co_u32_e32 v8, vcc, -1, v1, vcc
	v_mul_lo_u32 v8, v8, v0
	v_mul_lo_u32 v9, v7, v1
	v_mad_u64_u32 v[10:11], s[24:25], v7, v0, 0
	v_ashrrev_i32_e32 v7, 31, v6
	s_ashr_i32 s23, s11, 31
	v_add3_u32 v11, v11, v9, v8
	v_mul_lo_u32 v12, s7, v6
	v_mul_lo_u32 v13, s6, v7
	v_mad_u64_u32 v[8:9], s[24:25], s6, v6, 0
	v_add3_u32 v9, v9, v13, v12
	s_add_u32 s18, s18, s20
	s_mov_b32 s22, s11
	v_lshlrev_b64 v[8:9], 3, v[8:9]
	s_addc_u32 s19, s19, s21
	v_mov_b32_e32 v12, s19
	v_add_co_u32_e32 v8, vcc, s18, v8
	s_lshl_b64 s[18:19], s[6:7], 3
	s_lshl_b64 s[20:21], s[22:23], 3
	s_add_u32 s20, s20, -8
	v_addc_co_u32_e32 v9, vcc, v12, v9, vcc
	s_addc_u32 s21, s21, -1
	v_pk_mov_b32 v[12:13], s[14:15], s[14:15] op_sel:[0,1]
	v_mad_u64_u32 v[12:13], s[14:15], s20, v0, v[12:13]
	v_mul_lo_u32 v14, s20, v1
	v_mul_lo_u32 v15, s21, v0
	v_add3_u32 v13, v15, v13, v14
	v_lshlrev_b64 v[14:15], 3, v[6:7]
	v_add_co_u32_e32 v7, vcc, v12, v14
	v_lshlrev_b64 v[10:11], 2, v[10:11]
	v_addc_co_u32_e32 v12, vcc, v13, v15, vcc
	v_and_b32_e32 v10, -8, v10
	v_sub_co_u32_e32 v7, vcc, v7, v10
	v_subb_co_u32_e32 v11, vcc, v12, v11, vcc
	v_mov_b32_e32 v12, s13
	v_add_co_u32_e32 v10, vcc, s12, v7
	v_addc_co_u32_e32 v11, vcc, v12, v11, vcc
	s_mov_b64 s[12:13], 0
	v_mov_b32_e32 v7, s19
.LBB16_6:                               ; =>This Inner Loop Header: Depth=1
	global_load_dwordx2 v[12:13], v[10:11], off
	global_load_dwordx2 v[14:15], v[8:9], off
	v_add_co_u32_e32 v8, vcc, s18, v8
	v_addc_co_u32_e32 v9, vcc, v9, v7, vcc
	v_add_co_u32_e32 v10, vcc, 8, v10
	v_add_u32_e32 v6, 1, v6
	v_addc_co_u32_e32 v11, vcc, 0, v11, vcc
	v_cmp_le_i32_e32 vcc, s11, v6
	s_or_b64 s[12:13], vcc, s[12:13]
	s_waitcnt vmcnt(0)
	v_fmac_f64_e32 v[4:5], v[12:13], v[14:15]
	s_andn2_b64 exec, exec, s[12:13]
	s_cbranch_execnz .LBB16_6
; %bb.7:
	s_or_b64 exec, exec, s[12:13]
.LBB16_8:
	s_or_b64 exec, exec, s[16:17]
	s_branch .LBB16_17
.LBB16_9:
                                        ; implicit-def: $vgpr4_vgpr5
	s_and_b64 vcc, exec, s[16:17]
	s_cbranch_vccz .LBB16_17
; %bb.10:
	s_and_b64 vcc, exec, s[0:1]
	v_add_u32_e32 v4, 1, v0
	s_cbranch_vccnz .LBB16_12
; %bb.11:
	v_mad_i64_i32 v[6:7], s[0:1], v4, v0, 0
	v_lshlrev_b64 v[6:7], 2, v[6:7]
	v_and_b32_e32 v5, -8, v6
	v_mov_b32_e32 v6, s10
	v_add_co_u32_e32 v5, vcc, s9, v5
	v_addc_co_u32_e32 v8, vcc, v6, v7, vcc
	v_lshlrev_b64 v[6:7], 3, v[0:1]
	v_add_co_u32_e32 v6, vcc, v5, v6
	v_addc_co_u32_e32 v7, vcc, v8, v7, vcc
	global_load_dwordx2 v[6:7], v[6:7], off
	s_waitcnt vmcnt(0)
	v_mul_f64 v[2:3], v[2:3], v[6:7]
.LBB16_12:
	v_cmp_lt_i32_e32 vcc, 0, v0
	s_and_saveexec_b64 s[0:1], vcc
	s_cbranch_execz .LBB16_16
; %bb.13:
	v_mad_u64_u32 v[6:7], s[12:13], v4, v0, 0
	v_mov_b32_e32 v8, v7
	v_mad_u64_u32 v[4:5], s[12:13], v4, v1, v[8:9]
	v_mov_b32_e32 v7, v4
	v_lshlrev_b64 v[4:5], 2, v[6:7]
	v_and_b32_e32 v4, -8, v4
	v_mov_b32_e32 v6, s10
	v_add_co_u32_e32 v4, vcc, s9, v4
	v_addc_co_u32_e32 v5, vcc, v6, v5, vcc
	s_lshl_b64 s[10:11], s[6:7], 3
	s_mov_b64 s[6:7], 0
	v_mov_b32_e32 v6, v0
.LBB16_14:                              ; =>This Inner Loop Header: Depth=1
	global_load_dwordx2 v[8:9], v[4:5], off
	s_load_dwordx2 s[12:13], s[2:3], 0x0
	v_add_co_u32_e32 v4, vcc, 8, v4
	v_add_u32_e32 v6, -1, v6
	v_addc_co_u32_e32 v5, vcc, 0, v5, vcc
	s_add_u32 s2, s2, s10
	s_addc_u32 s3, s3, s11
	v_cmp_eq_u32_e32 vcc, 0, v6
	s_or_b64 s[6:7], vcc, s[6:7]
	s_waitcnt vmcnt(0) lgkmcnt(0)
	v_fmac_f64_e32 v[2:3], s[12:13], v[8:9]
	s_andn2_b64 exec, exec, s[6:7]
	s_cbranch_execnz .LBB16_14
; %bb.15:
	s_or_b64 exec, exec, s[6:7]
.LBB16_16:
	s_or_b64 exec, exec, s[0:1]
	s_waitcnt vmcnt(0)
	v_pk_mov_b32 v[4:5], v[2:3], v[2:3] op_sel:[0,1]
.LBB16_17:
	s_load_dwordx4 s[0:3], s[4:5], 0x40
	v_lshlrev_b64 v[0:1], 3, v[0:1]
	s_waitcnt lgkmcnt(0)
	s_mul_i32 s3, s8, s3
	s_mul_hi_u32 s4, s8, s2
	s_mul_i32 s2, s8, s2
	s_add_i32 s3, s4, s3
	s_lshl_b64 s[2:3], s[2:3], 3
	s_add_u32 s0, s0, s2
	s_addc_u32 s1, s1, s3
	s_waitcnt vmcnt(0)
	v_mov_b32_e32 v2, s1
	v_add_co_u32_e32 v0, vcc, s0, v0
	v_addc_co_u32_e32 v1, vcc, v2, v1, vcc
	global_store_dwordx2 v[0:1], v[4:5], off
.LBB16_18:
	s_endpgm
	.section	.rodata,"a",@progbits
	.p2align	6, 0x0
	.amdhsa_kernel _ZL20rocblas_tpmvt_kernelILi512EPKPKdPKPdS4_EvbbiT0_llT1_lllT2_li
		.amdhsa_group_segment_fixed_size 0
		.amdhsa_private_segment_fixed_size 0
		.amdhsa_kernarg_size 344
		.amdhsa_user_sgpr_count 6
		.amdhsa_user_sgpr_private_segment_buffer 1
		.amdhsa_user_sgpr_dispatch_ptr 0
		.amdhsa_user_sgpr_queue_ptr 0
		.amdhsa_user_sgpr_kernarg_segment_ptr 1
		.amdhsa_user_sgpr_dispatch_id 0
		.amdhsa_user_sgpr_flat_scratch_init 0
		.amdhsa_user_sgpr_kernarg_preload_length 0
		.amdhsa_user_sgpr_kernarg_preload_offset 0
		.amdhsa_user_sgpr_private_segment_size 0
		.amdhsa_uses_dynamic_stack 0
		.amdhsa_system_sgpr_private_segment_wavefront_offset 0
		.amdhsa_system_sgpr_workgroup_id_x 1
		.amdhsa_system_sgpr_workgroup_id_y 0
		.amdhsa_system_sgpr_workgroup_id_z 1
		.amdhsa_system_sgpr_workgroup_info 0
		.amdhsa_system_vgpr_workitem_id 0
		.amdhsa_next_free_vgpr 16
		.amdhsa_next_free_sgpr 27
		.amdhsa_accum_offset 16
		.amdhsa_reserve_vcc 1
		.amdhsa_reserve_flat_scratch 0
		.amdhsa_float_round_mode_32 0
		.amdhsa_float_round_mode_16_64 0
		.amdhsa_float_denorm_mode_32 3
		.amdhsa_float_denorm_mode_16_64 3
		.amdhsa_dx10_clamp 1
		.amdhsa_ieee_mode 1
		.amdhsa_fp16_overflow 0
		.amdhsa_tg_split 0
		.amdhsa_exception_fp_ieee_invalid_op 0
		.amdhsa_exception_fp_denorm_src 0
		.amdhsa_exception_fp_ieee_div_zero 0
		.amdhsa_exception_fp_ieee_overflow 0
		.amdhsa_exception_fp_ieee_underflow 0
		.amdhsa_exception_fp_ieee_inexact 0
		.amdhsa_exception_int_div_zero 0
	.end_amdhsa_kernel
	.section	.text._ZL20rocblas_tpmvt_kernelILi512EPKPKdPKPdS4_EvbbiT0_llT1_lllT2_li,"axG",@progbits,_ZL20rocblas_tpmvt_kernelILi512EPKPKdPKPdS4_EvbbiT0_llT1_lllT2_li,comdat
.Lfunc_end16:
	.size	_ZL20rocblas_tpmvt_kernelILi512EPKPKdPKPdS4_EvbbiT0_llT1_lllT2_li, .Lfunc_end16-_ZL20rocblas_tpmvt_kernelILi512EPKPKdPKPdS4_EvbbiT0_llT1_lllT2_li
                                        ; -- End function
	.section	.AMDGPU.csdata,"",@progbits
; Kernel info:
; codeLenInByte = 1020
; NumSgprs: 31
; NumVgprs: 16
; NumAgprs: 0
; TotalNumVgprs: 16
; ScratchSize: 0
; MemoryBound: 0
; FloatMode: 240
; IeeeMode: 1
; LDSByteSize: 0 bytes/workgroup (compile time only)
; SGPRBlocks: 3
; VGPRBlocks: 1
; NumSGPRsForWavesPerEU: 31
; NumVGPRsForWavesPerEU: 16
; AccumOffset: 16
; Occupancy: 8
; WaveLimiterHint : 1
; COMPUTE_PGM_RSRC2:SCRATCH_EN: 0
; COMPUTE_PGM_RSRC2:USER_SGPR: 6
; COMPUTE_PGM_RSRC2:TRAP_HANDLER: 0
; COMPUTE_PGM_RSRC2:TGID_X_EN: 1
; COMPUTE_PGM_RSRC2:TGID_Y_EN: 0
; COMPUTE_PGM_RSRC2:TGID_Z_EN: 1
; COMPUTE_PGM_RSRC2:TIDIG_COMP_CNT: 0
; COMPUTE_PGM_RSRC3_GFX90A:ACCUM_OFFSET: 3
; COMPUTE_PGM_RSRC3_GFX90A:TG_SPLIT: 0
	.section	.text._ZL20rocblas_tpmvc_kernelILi512EPKPKdPKPdS4_EvbbiT0_llT1_lllT2_li,"axG",@progbits,_ZL20rocblas_tpmvc_kernelILi512EPKPKdPKPdS4_EvbbiT0_llT1_lllT2_li,comdat
	.globl	_ZL20rocblas_tpmvc_kernelILi512EPKPKdPKPdS4_EvbbiT0_llT1_lllT2_li ; -- Begin function _ZL20rocblas_tpmvc_kernelILi512EPKPKdPKPdS4_EvbbiT0_llT1_lllT2_li
	.p2align	8
	.type	_ZL20rocblas_tpmvc_kernelILi512EPKPKdPKPdS4_EvbbiT0_llT1_lllT2_li,@function
_ZL20rocblas_tpmvc_kernelILi512EPKPKdPKPdS4_EvbbiT0_llT1_lllT2_li: ; @_ZL20rocblas_tpmvc_kernelILi512EPKPKdPKPdS4_EvbbiT0_llT1_lllT2_li
; %bb.0:
	s_load_dword s0, s[4:5], 0x64
	s_load_dwordx2 s[10:11], s[4:5], 0x0
	s_waitcnt lgkmcnt(0)
	s_and_b32 s0, s0, 0xffff
	s_mul_i32 s6, s6, s0
	v_add_u32_e32 v0, s6, v0
	v_cmp_gt_i32_e32 vcc, s11, v0
	s_and_saveexec_b64 s[0:1], vcc
	s_cbranch_execz .LBB17_18
; %bb.1:
	s_mov_b32 s8, s7
	s_load_dword s12, s[4:5], 0x0
	s_load_dwordx4 s[0:3], s[4:5], 0x8
	s_load_dwordx2 s[6:7], s[4:5], 0x30
	s_mov_b32 s9, 0
	v_ashrrev_i32_e32 v1, 31, v0
	s_waitcnt lgkmcnt(0)
	s_and_b32 s26, s12, 1
	s_bitcmp1_b32 s10, 8
	s_cselect_b64 s[12:13], -1, 0
	s_lshl_b64 s[16:17], s[8:9], 3
	s_xor_b64 s[24:25], s[12:13], -1
	s_add_u32 s0, s0, s16
	s_addc_u32 s1, s1, s17
	s_load_dwordx2 s[12:13], s[0:1], 0x0
	s_load_dwordx4 s[20:23], s[4:5], 0x20
	s_lshl_b64 s[14:15], s[2:3], 3
	v_mul_lo_u32 v4, v0, s7
	v_mul_lo_u32 v5, v1, s6
	s_waitcnt lgkmcnt(0)
	s_add_u32 s9, s12, s14
	s_addc_u32 s10, s13, s15
	s_add_u32 s0, s20, s16
	s_addc_u32 s1, s21, s17
	s_load_dwordx2 s[18:19], s[0:1], 0x0
	v_mad_u64_u32 v[2:3], s[0:1], v0, s6, 0
	s_lshl_b64 s[20:21], s[22:23], 3
	v_add3_u32 v3, v3, v4, v5
	s_waitcnt lgkmcnt(0)
	s_add_u32 s2, s18, s20
	s_addc_u32 s3, s19, s21
	v_lshlrev_b64 v[2:3], 3, v[2:3]
	v_mov_b32_e32 v4, s3
	v_add_co_u32_e32 v2, vcc, s2, v2
	v_addc_co_u32_e32 v3, vcc, v4, v3, vcc
	global_load_dwordx2 v[2:3], v[2:3], off
	v_cndmask_b32_e64 v4, 0, 1, s[24:25]
	s_mov_b64 s[16:17], -1
	s_cmp_eq_u32 s26, 0
	v_cmp_ne_u32_e64 s[0:1], 1, v4
	s_cbranch_scc0 .LBB17_9
; %bb.2:
	s_and_b64 vcc, exec, s[0:1]
	s_waitcnt vmcnt(0)
	v_pk_mov_b32 v[4:5], v[2:3], v[2:3] op_sel:[0,1]
	s_cbranch_vccnz .LBB17_4
; %bb.3:
	v_add_co_u32_e32 v6, vcc, -1, v0
	v_addc_co_u32_e32 v7, vcc, -1, v1, vcc
	v_mul_lo_u32 v8, v7, v0
	v_mul_lo_u32 v9, v6, v1
	v_mad_u64_u32 v[6:7], s[16:17], v6, v0, 0
	v_add3_u32 v7, v7, v9, v8
	v_mad_i64_i32 v[4:5], s[16:17], v0, s11, 0
	v_lshrrev_b64 v[6:7], 1, v[6:7]
	v_sub_co_u32_e32 v4, vcc, v4, v6
	v_subb_co_u32_e32 v5, vcc, v5, v7, vcc
	v_lshlrev_b64 v[4:5], 3, v[4:5]
	v_mov_b32_e32 v6, s10
	v_add_co_u32_e32 v4, vcc, s9, v4
	v_addc_co_u32_e32 v5, vcc, v6, v5, vcc
	global_load_dwordx2 v[4:5], v[4:5], off
	s_waitcnt vmcnt(0)
	v_mul_f64 v[4:5], v[2:3], v[4:5]
.LBB17_4:
	v_add_u32_e32 v6, 1, v0
	v_cmp_gt_i32_e32 vcc, s11, v6
	s_and_saveexec_b64 s[16:17], vcc
	s_cbranch_execz .LBB17_8
; %bb.5:
	v_add_co_u32_e32 v7, vcc, -1, v0
	v_addc_co_u32_e32 v8, vcc, -1, v1, vcc
	v_mul_lo_u32 v8, v8, v0
	v_mul_lo_u32 v9, v7, v1
	v_mad_u64_u32 v[10:11], s[24:25], v7, v0, 0
	v_ashrrev_i32_e32 v7, 31, v6
	s_ashr_i32 s23, s11, 31
	v_add3_u32 v11, v11, v9, v8
	v_mul_lo_u32 v12, s7, v6
	v_mul_lo_u32 v13, s6, v7
	v_mad_u64_u32 v[8:9], s[24:25], s6, v6, 0
	v_add3_u32 v9, v9, v13, v12
	s_add_u32 s18, s18, s20
	s_mov_b32 s22, s11
	v_lshlrev_b64 v[8:9], 3, v[8:9]
	s_addc_u32 s19, s19, s21
	v_mov_b32_e32 v12, s19
	v_add_co_u32_e32 v8, vcc, s18, v8
	s_lshl_b64 s[18:19], s[6:7], 3
	s_lshl_b64 s[20:21], s[22:23], 3
	s_add_u32 s20, s20, -8
	v_addc_co_u32_e32 v9, vcc, v12, v9, vcc
	s_addc_u32 s21, s21, -1
	v_pk_mov_b32 v[12:13], s[14:15], s[14:15] op_sel:[0,1]
	v_mad_u64_u32 v[12:13], s[14:15], s20, v0, v[12:13]
	v_mul_lo_u32 v14, s20, v1
	v_mul_lo_u32 v15, s21, v0
	v_add3_u32 v13, v15, v13, v14
	v_lshlrev_b64 v[14:15], 3, v[6:7]
	v_add_co_u32_e32 v7, vcc, v12, v14
	v_lshlrev_b64 v[10:11], 2, v[10:11]
	v_addc_co_u32_e32 v12, vcc, v13, v15, vcc
	v_and_b32_e32 v10, -8, v10
	v_sub_co_u32_e32 v7, vcc, v7, v10
	v_subb_co_u32_e32 v11, vcc, v12, v11, vcc
	v_mov_b32_e32 v12, s13
	v_add_co_u32_e32 v10, vcc, s12, v7
	v_addc_co_u32_e32 v11, vcc, v12, v11, vcc
	s_mov_b64 s[12:13], 0
	v_mov_b32_e32 v7, s19
.LBB17_6:                               ; =>This Inner Loop Header: Depth=1
	global_load_dwordx2 v[12:13], v[10:11], off
	global_load_dwordx2 v[14:15], v[8:9], off
	v_add_co_u32_e32 v8, vcc, s18, v8
	v_addc_co_u32_e32 v9, vcc, v9, v7, vcc
	v_add_co_u32_e32 v10, vcc, 8, v10
	v_add_u32_e32 v6, 1, v6
	v_addc_co_u32_e32 v11, vcc, 0, v11, vcc
	v_cmp_le_i32_e32 vcc, s11, v6
	s_or_b64 s[12:13], vcc, s[12:13]
	s_waitcnt vmcnt(0)
	v_fmac_f64_e32 v[4:5], v[12:13], v[14:15]
	s_andn2_b64 exec, exec, s[12:13]
	s_cbranch_execnz .LBB17_6
; %bb.7:
	s_or_b64 exec, exec, s[12:13]
.LBB17_8:
	s_or_b64 exec, exec, s[16:17]
	s_branch .LBB17_17
.LBB17_9:
                                        ; implicit-def: $vgpr4_vgpr5
	s_and_b64 vcc, exec, s[16:17]
	s_cbranch_vccz .LBB17_17
; %bb.10:
	s_and_b64 vcc, exec, s[0:1]
	v_add_u32_e32 v4, 1, v0
	s_cbranch_vccnz .LBB17_12
; %bb.11:
	v_mad_i64_i32 v[6:7], s[0:1], v4, v0, 0
	v_lshlrev_b64 v[6:7], 2, v[6:7]
	v_and_b32_e32 v5, -8, v6
	v_mov_b32_e32 v6, s10
	v_add_co_u32_e32 v5, vcc, s9, v5
	v_addc_co_u32_e32 v8, vcc, v6, v7, vcc
	v_lshlrev_b64 v[6:7], 3, v[0:1]
	v_add_co_u32_e32 v6, vcc, v5, v6
	v_addc_co_u32_e32 v7, vcc, v8, v7, vcc
	global_load_dwordx2 v[6:7], v[6:7], off
	s_waitcnt vmcnt(0)
	v_mul_f64 v[2:3], v[2:3], v[6:7]
.LBB17_12:
	v_cmp_lt_i32_e32 vcc, 0, v0
	s_and_saveexec_b64 s[0:1], vcc
	s_cbranch_execz .LBB17_16
; %bb.13:
	v_mad_u64_u32 v[6:7], s[12:13], v4, v0, 0
	v_mov_b32_e32 v8, v7
	v_mad_u64_u32 v[4:5], s[12:13], v4, v1, v[8:9]
	v_mov_b32_e32 v7, v4
	v_lshlrev_b64 v[4:5], 2, v[6:7]
	v_and_b32_e32 v4, -8, v4
	v_mov_b32_e32 v6, s10
	v_add_co_u32_e32 v4, vcc, s9, v4
	v_addc_co_u32_e32 v5, vcc, v6, v5, vcc
	s_lshl_b64 s[10:11], s[6:7], 3
	s_mov_b64 s[6:7], 0
	v_mov_b32_e32 v6, v0
.LBB17_14:                              ; =>This Inner Loop Header: Depth=1
	global_load_dwordx2 v[8:9], v[4:5], off
	s_load_dwordx2 s[12:13], s[2:3], 0x0
	v_add_co_u32_e32 v4, vcc, 8, v4
	v_add_u32_e32 v6, -1, v6
	v_addc_co_u32_e32 v5, vcc, 0, v5, vcc
	s_add_u32 s2, s2, s10
	s_addc_u32 s3, s3, s11
	v_cmp_eq_u32_e32 vcc, 0, v6
	s_or_b64 s[6:7], vcc, s[6:7]
	s_waitcnt vmcnt(0) lgkmcnt(0)
	v_fmac_f64_e32 v[2:3], s[12:13], v[8:9]
	s_andn2_b64 exec, exec, s[6:7]
	s_cbranch_execnz .LBB17_14
; %bb.15:
	s_or_b64 exec, exec, s[6:7]
.LBB17_16:
	s_or_b64 exec, exec, s[0:1]
	s_waitcnt vmcnt(0)
	v_pk_mov_b32 v[4:5], v[2:3], v[2:3] op_sel:[0,1]
.LBB17_17:
	s_load_dwordx4 s[0:3], s[4:5], 0x40
	v_lshlrev_b64 v[0:1], 3, v[0:1]
	s_waitcnt lgkmcnt(0)
	s_mul_i32 s3, s8, s3
	s_mul_hi_u32 s4, s8, s2
	s_mul_i32 s2, s8, s2
	s_add_i32 s3, s4, s3
	s_lshl_b64 s[2:3], s[2:3], 3
	s_add_u32 s0, s0, s2
	s_addc_u32 s1, s1, s3
	s_waitcnt vmcnt(0)
	v_mov_b32_e32 v2, s1
	v_add_co_u32_e32 v0, vcc, s0, v0
	v_addc_co_u32_e32 v1, vcc, v2, v1, vcc
	global_store_dwordx2 v[0:1], v[4:5], off
.LBB17_18:
	s_endpgm
	.section	.rodata,"a",@progbits
	.p2align	6, 0x0
	.amdhsa_kernel _ZL20rocblas_tpmvc_kernelILi512EPKPKdPKPdS4_EvbbiT0_llT1_lllT2_li
		.amdhsa_group_segment_fixed_size 0
		.amdhsa_private_segment_fixed_size 0
		.amdhsa_kernarg_size 344
		.amdhsa_user_sgpr_count 6
		.amdhsa_user_sgpr_private_segment_buffer 1
		.amdhsa_user_sgpr_dispatch_ptr 0
		.amdhsa_user_sgpr_queue_ptr 0
		.amdhsa_user_sgpr_kernarg_segment_ptr 1
		.amdhsa_user_sgpr_dispatch_id 0
		.amdhsa_user_sgpr_flat_scratch_init 0
		.amdhsa_user_sgpr_kernarg_preload_length 0
		.amdhsa_user_sgpr_kernarg_preload_offset 0
		.amdhsa_user_sgpr_private_segment_size 0
		.amdhsa_uses_dynamic_stack 0
		.amdhsa_system_sgpr_private_segment_wavefront_offset 0
		.amdhsa_system_sgpr_workgroup_id_x 1
		.amdhsa_system_sgpr_workgroup_id_y 0
		.amdhsa_system_sgpr_workgroup_id_z 1
		.amdhsa_system_sgpr_workgroup_info 0
		.amdhsa_system_vgpr_workitem_id 0
		.amdhsa_next_free_vgpr 16
		.amdhsa_next_free_sgpr 27
		.amdhsa_accum_offset 16
		.amdhsa_reserve_vcc 1
		.amdhsa_reserve_flat_scratch 0
		.amdhsa_float_round_mode_32 0
		.amdhsa_float_round_mode_16_64 0
		.amdhsa_float_denorm_mode_32 3
		.amdhsa_float_denorm_mode_16_64 3
		.amdhsa_dx10_clamp 1
		.amdhsa_ieee_mode 1
		.amdhsa_fp16_overflow 0
		.amdhsa_tg_split 0
		.amdhsa_exception_fp_ieee_invalid_op 0
		.amdhsa_exception_fp_denorm_src 0
		.amdhsa_exception_fp_ieee_div_zero 0
		.amdhsa_exception_fp_ieee_overflow 0
		.amdhsa_exception_fp_ieee_underflow 0
		.amdhsa_exception_fp_ieee_inexact 0
		.amdhsa_exception_int_div_zero 0
	.end_amdhsa_kernel
	.section	.text._ZL20rocblas_tpmvc_kernelILi512EPKPKdPKPdS4_EvbbiT0_llT1_lllT2_li,"axG",@progbits,_ZL20rocblas_tpmvc_kernelILi512EPKPKdPKPdS4_EvbbiT0_llT1_lllT2_li,comdat
.Lfunc_end17:
	.size	_ZL20rocblas_tpmvc_kernelILi512EPKPKdPKPdS4_EvbbiT0_llT1_lllT2_li, .Lfunc_end17-_ZL20rocblas_tpmvc_kernelILi512EPKPKdPKPdS4_EvbbiT0_llT1_lllT2_li
                                        ; -- End function
	.section	.AMDGPU.csdata,"",@progbits
; Kernel info:
; codeLenInByte = 1020
; NumSgprs: 31
; NumVgprs: 16
; NumAgprs: 0
; TotalNumVgprs: 16
; ScratchSize: 0
; MemoryBound: 0
; FloatMode: 240
; IeeeMode: 1
; LDSByteSize: 0 bytes/workgroup (compile time only)
; SGPRBlocks: 3
; VGPRBlocks: 1
; NumSGPRsForWavesPerEU: 31
; NumVGPRsForWavesPerEU: 16
; AccumOffset: 16
; Occupancy: 8
; WaveLimiterHint : 1
; COMPUTE_PGM_RSRC2:SCRATCH_EN: 0
; COMPUTE_PGM_RSRC2:USER_SGPR: 6
; COMPUTE_PGM_RSRC2:TRAP_HANDLER: 0
; COMPUTE_PGM_RSRC2:TGID_X_EN: 1
; COMPUTE_PGM_RSRC2:TGID_Y_EN: 0
; COMPUTE_PGM_RSRC2:TGID_Z_EN: 1
; COMPUTE_PGM_RSRC2:TIDIG_COMP_CNT: 0
; COMPUTE_PGM_RSRC3_GFX90A:ACCUM_OFFSET: 3
; COMPUTE_PGM_RSRC3_GFX90A:TG_SPLIT: 0
	.section	.text._ZL20rocblas_tpmvn_kernelILi512EPKPK19rocblas_complex_numIfEPKPS1_S6_EvbbiT0_llT1_lllT2_li,"axG",@progbits,_ZL20rocblas_tpmvn_kernelILi512EPKPK19rocblas_complex_numIfEPKPS1_S6_EvbbiT0_llT1_lllT2_li,comdat
	.globl	_ZL20rocblas_tpmvn_kernelILi512EPKPK19rocblas_complex_numIfEPKPS1_S6_EvbbiT0_llT1_lllT2_li ; -- Begin function _ZL20rocblas_tpmvn_kernelILi512EPKPK19rocblas_complex_numIfEPKPS1_S6_EvbbiT0_llT1_lllT2_li
	.p2align	8
	.type	_ZL20rocblas_tpmvn_kernelILi512EPKPK19rocblas_complex_numIfEPKPS1_S6_EvbbiT0_llT1_lllT2_li,@function
_ZL20rocblas_tpmvn_kernelILi512EPKPK19rocblas_complex_numIfEPKPS1_S6_EvbbiT0_llT1_lllT2_li: ; @_ZL20rocblas_tpmvn_kernelILi512EPKPK19rocblas_complex_numIfEPKPS1_S6_EvbbiT0_llT1_lllT2_li
; %bb.0:
	s_load_dword s0, s[4:5], 0x64
	s_load_dwordx2 s[10:11], s[4:5], 0x0
	s_waitcnt lgkmcnt(0)
	s_and_b32 s0, s0, 0xffff
	s_mul_i32 s6, s6, s0
	v_add_u32_e32 v0, s6, v0
	v_cmp_gt_i32_e32 vcc, s11, v0
	s_and_saveexec_b64 s[0:1], vcc
	s_cbranch_execz .LBB18_18
; %bb.1:
	s_mov_b32 s8, s7
	s_load_dword s12, s[4:5], 0x0
	s_load_dwordx4 s[0:3], s[4:5], 0x8
	s_load_dwordx2 s[6:7], s[4:5], 0x30
	s_mov_b32 s9, 0
	v_ashrrev_i32_e32 v1, 31, v0
	s_waitcnt lgkmcnt(0)
	s_and_b32 s24, s12, 1
	s_bitcmp1_b32 s10, 8
	s_cselect_b64 s[12:13], -1, 0
	s_lshl_b64 s[20:21], s[8:9], 3
	s_xor_b64 s[22:23], s[12:13], -1
	s_add_u32 s0, s0, s20
	s_addc_u32 s1, s1, s21
	s_load_dwordx2 s[16:17], s[0:1], 0x0
	s_load_dwordx4 s[12:15], s[4:5], 0x20
	s_lshl_b64 s[18:19], s[2:3], 3
	v_mul_lo_u32 v4, v0, s7
	v_mul_lo_u32 v5, v1, s6
	s_waitcnt lgkmcnt(0)
	s_add_u32 s9, s16, s18
	s_addc_u32 s10, s17, s19
	s_add_u32 s0, s12, s20
	s_addc_u32 s1, s13, s21
	s_load_dwordx2 s[2:3], s[0:1], 0x0
	v_mad_u64_u32 v[2:3], s[0:1], v0, s6, 0
	s_lshl_b64 s[12:13], s[14:15], 3
	v_add3_u32 v3, v3, v4, v5
	s_waitcnt lgkmcnt(0)
	s_add_u32 s0, s2, s12
	s_addc_u32 s1, s3, s13
	v_lshlrev_b64 v[2:3], 3, v[2:3]
	v_mov_b32_e32 v4, s1
	v_add_co_u32_e32 v2, vcc, s0, v2
	v_addc_co_u32_e32 v3, vcc, v4, v3, vcc
	global_load_dwordx2 v[4:5], v[2:3], off
	v_cndmask_b32_e64 v2, 0, 1, s[22:23]
	s_mov_b64 s[14:15], -1
	s_cmp_eq_u32 s24, 0
	v_cmp_ne_u32_e64 s[0:1], 1, v2
	s_cbranch_scc0 .LBB18_9
; %bb.2:
	s_and_b64 vcc, exec, s[0:1]
	s_waitcnt vmcnt(0)
	v_mov_b32_e32 v2, v4
	v_mov_b32_e32 v3, v5
	s_cbranch_vccnz .LBB18_4
; %bb.3:
	v_add_co_u32_e32 v6, vcc, -1, v0
	v_addc_co_u32_e32 v7, vcc, -1, v1, vcc
	v_mul_lo_u32 v8, v7, v0
	v_mul_lo_u32 v9, v6, v1
	v_mad_u64_u32 v[6:7], s[14:15], v6, v0, 0
	v_add3_u32 v7, v7, v9, v8
	v_mad_i64_i32 v[2:3], s[14:15], v0, s11, 0
	v_lshrrev_b64 v[6:7], 1, v[6:7]
	v_sub_co_u32_e32 v2, vcc, v2, v6
	v_subb_co_u32_e32 v3, vcc, v3, v7, vcc
	v_lshlrev_b64 v[2:3], 3, v[2:3]
	v_mov_b32_e32 v6, s10
	v_add_co_u32_e32 v2, vcc, s9, v2
	v_addc_co_u32_e32 v3, vcc, v6, v3, vcc
	global_load_dwordx2 v[6:7], v[2:3], off
	s_waitcnt vmcnt(0)
	v_mul_f32_e32 v2, v5, v7
	v_mul_f32_e32 v3, v4, v7
	v_fma_f32 v2, v4, v6, -v2
	v_fmac_f32_e32 v3, v5, v6
.LBB18_4:
	v_cmp_lt_i32_e32 vcc, 0, v0
	s_and_saveexec_b64 s[14:15], vcc
	s_cbranch_execz .LBB18_8
; %bb.5:
	s_ashr_i32 s21, s11, 31
	s_add_u32 s16, s16, s18
	s_mov_b32 s20, s11
	v_lshlrev_b64 v[6:7], 3, v[0:1]
	s_addc_u32 s17, s17, s19
	v_mov_b32_e32 v8, s17
	v_add_co_u32_e32 v6, vcc, s16, v6
	s_lshl_b64 s[16:17], s[20:21], 3
	s_add_u32 s26, s16, -8
	s_addc_u32 s20, s17, -1
	s_add_u32 s16, s2, s12
	s_addc_u32 s17, s3, s13
	s_add_u32 s27, s16, 4
	v_addc_co_u32_e32 v7, vcc, v8, v7, vcc
	s_addc_u32 s28, s17, 0
	s_lshl_b64 s[18:19], s[6:7], 3
	s_mov_b64 s[16:17], 0
	v_mov_b32_e32 v8, s20
	s_mov_b64 s[20:21], 0
	s_mov_b64 s[24:25], 0
	;; [unrolled: 1-line block ×3, first 2 shown]
.LBB18_6:                               ; =>This Inner Loop Header: Depth=1
	s_lshl_b64 s[30:31], s[20:21], 2
	s_and_b32 s29, s30, -8
	v_mov_b32_e32 v9, s31
	v_subrev_co_u32_e32 v10, vcc, s29, v6
	v_subb_co_u32_e32 v11, vcc, v7, v9, vcc
	global_load_dwordx2 v[10:11], v[10:11], off
	s_add_u32 s30, s27, -4
	s_addc_u32 s31, s28, -1
	s_add_u32 s22, s22, 1
	s_load_dwordx2 s[30:31], s[30:31], 0x0
	s_addc_u32 s23, s23, 0
	s_add_u32 s34, s24, 2
	s_addc_u32 s35, s25, 0
	s_add_u32 s20, s20, s24
	v_add_co_u32_e32 v6, vcc, s26, v6
	s_addc_u32 s21, s21, s25
	v_addc_co_u32_e32 v7, vcc, v7, v8, vcc
	s_add_u32 s27, s27, s18
	v_cmp_eq_u32_e32 vcc, s22, v0
	s_addc_u32 s28, s28, s19
	s_mov_b64 s[24:25], s[34:35]
	s_or_b64 s[16:17], vcc, s[16:17]
	s_waitcnt vmcnt(0) lgkmcnt(0)
	v_mul_f32_e32 v9, s31, v11
	v_mul_f32_e32 v11, s30, v11
	v_fma_f32 v9, s30, v10, -v9
	v_fmac_f32_e32 v11, s31, v10
	v_add_f32_e32 v2, v2, v9
	v_add_f32_e32 v3, v3, v11
	s_andn2_b64 exec, exec, s[16:17]
	s_cbranch_execnz .LBB18_6
; %bb.7:
	s_or_b64 exec, exec, s[16:17]
.LBB18_8:
	s_or_b64 exec, exec, s[14:15]
	s_branch .LBB18_17
.LBB18_9:
                                        ; implicit-def: $vgpr3
	s_and_b64 vcc, exec, s[14:15]
	s_cbranch_vccz .LBB18_17
; %bb.10:
	s_and_b64 vcc, exec, s[0:1]
	v_add_u32_e32 v6, 1, v0
	s_cbranch_vccnz .LBB18_12
; %bb.11:
	v_mad_i64_i32 v[2:3], s[0:1], v6, v0, 0
	v_lshlrev_b64 v[2:3], 2, v[2:3]
	v_and_b32_e32 v2, -8, v2
	v_mov_b32_e32 v7, s10
	v_add_co_u32_e32 v8, vcc, s9, v2
	v_addc_co_u32_e32 v7, vcc, v7, v3, vcc
	v_lshlrev_b64 v[2:3], 3, v[0:1]
	v_add_co_u32_e32 v2, vcc, v8, v2
	v_addc_co_u32_e32 v3, vcc, v7, v3, vcc
	global_load_dwordx2 v[8:9], v[2:3], off
	s_waitcnt vmcnt(0)
	v_pk_mul_f32 v[10:11], v[4:5], v[8:9]
	v_mul_f32_e32 v3, v5, v8
	v_sub_f32_e32 v2, v10, v11
	v_fmac_f32_e32 v3, v4, v9
	v_cmp_gt_i32_e32 vcc, s11, v6
	s_and_saveexec_b64 s[0:1], vcc
	s_cbranch_execnz .LBB18_13
	s_branch .LBB18_16
.LBB18_12:
	s_waitcnt vmcnt(0)
	v_mov_b32_e32 v2, v4
	v_mov_b32_e32 v3, v5
	v_cmp_gt_i32_e32 vcc, s11, v6
	s_and_saveexec_b64 s[0:1], vcc
	s_cbranch_execz .LBB18_16
.LBB18_13:
	v_lshlrev_b64 v[4:5], 3, v[0:1]
	v_mov_b32_e32 v7, s10
	v_add_co_u32_e32 v10, vcc, s9, v4
	v_addc_co_u32_e32 v11, vcc, v7, v5, vcc
	v_ashrrev_i32_e32 v7, 31, v6
	v_mul_lo_u32 v12, s7, v6
	v_mul_lo_u32 v13, s6, v7
	v_mad_u64_u32 v[8:9], s[14:15], s6, v6, 0
	v_add3_u32 v9, v9, v13, v12
	s_add_u32 s2, s2, s12
	v_lshlrev_b64 v[8:9], 3, v[8:9]
	s_addc_u32 s3, s3, s13
	v_mov_b32_e32 v12, s3
	v_add_co_u32_e32 v8, vcc, s2, v8
	v_addc_co_u32_e32 v9, vcc, v12, v9, vcc
	v_add_u32_e32 v4, 2, v0
	v_add_co_u32_e32 v8, vcc, 4, v8
	s_lshl_b64 s[6:7], s[6:7], 3
	v_ashrrev_i32_e32 v5, 31, v4
	v_addc_co_u32_e32 v9, vcc, 0, v9, vcc
	s_mov_b64 s[2:3], 0
	v_mov_b32_e32 v12, s7
.LBB18_14:                              ; =>This Inner Loop Header: Depth=1
	v_mul_lo_u32 v13, v5, v6
	v_mul_lo_u32 v18, v4, v7
	v_mad_u64_u32 v[14:15], s[12:13], v4, v6, 0
	v_add3_u32 v15, v15, v18, v13
	v_lshlrev_b64 v[14:15], 2, v[14:15]
	v_and_b32_e32 v13, -8, v14
	v_add_co_u32_e32 v14, vcc, v10, v13
	v_addc_co_u32_e32 v15, vcc, v11, v15, vcc
	global_load_dwordx2 v[16:17], v[8:9], off offset:-4
	v_add_co_u32_e32 v6, vcc, 1, v6
	global_load_dwordx2 v[14:15], v[14:15], off
	v_addc_co_u32_e32 v7, vcc, 0, v7, vcc
	v_add_co_u32_e32 v4, vcc, 1, v4
	v_addc_co_u32_e32 v5, vcc, 0, v5, vcc
	v_add_co_u32_e32 v8, vcc, s6, v8
	v_addc_co_u32_e32 v9, vcc, v9, v12, vcc
	v_cmp_le_i32_e32 vcc, s11, v6
	s_or_b64 s[2:3], vcc, s[2:3]
	s_waitcnt vmcnt(0)
	v_mul_f32_e32 v13, v17, v15
	v_mul_f32_e32 v15, v16, v15
	v_fma_f32 v13, v16, v14, -v13
	v_fmac_f32_e32 v15, v17, v14
	v_add_f32_e32 v2, v2, v13
	v_add_f32_e32 v3, v3, v15
	s_andn2_b64 exec, exec, s[2:3]
	s_cbranch_execnz .LBB18_14
; %bb.15:
	s_or_b64 exec, exec, s[2:3]
.LBB18_16:
	s_or_b64 exec, exec, s[0:1]
.LBB18_17:
	s_load_dwordx4 s[0:3], s[4:5], 0x40
	v_lshlrev_b64 v[0:1], 3, v[0:1]
	s_waitcnt lgkmcnt(0)
	s_mul_i32 s3, s8, s3
	s_mul_hi_u32 s4, s8, s2
	s_mul_i32 s2, s8, s2
	s_add_i32 s3, s4, s3
	s_lshl_b64 s[2:3], s[2:3], 3
	s_add_u32 s0, s0, s2
	s_addc_u32 s1, s1, s3
	s_waitcnt vmcnt(0)
	v_mov_b32_e32 v4, s1
	v_add_co_u32_e32 v0, vcc, s0, v0
	v_addc_co_u32_e32 v1, vcc, v4, v1, vcc
	global_store_dwordx2 v[0:1], v[2:3], off
.LBB18_18:
	s_endpgm
	.section	.rodata,"a",@progbits
	.p2align	6, 0x0
	.amdhsa_kernel _ZL20rocblas_tpmvn_kernelILi512EPKPK19rocblas_complex_numIfEPKPS1_S6_EvbbiT0_llT1_lllT2_li
		.amdhsa_group_segment_fixed_size 0
		.amdhsa_private_segment_fixed_size 0
		.amdhsa_kernarg_size 344
		.amdhsa_user_sgpr_count 6
		.amdhsa_user_sgpr_private_segment_buffer 1
		.amdhsa_user_sgpr_dispatch_ptr 0
		.amdhsa_user_sgpr_queue_ptr 0
		.amdhsa_user_sgpr_kernarg_segment_ptr 1
		.amdhsa_user_sgpr_dispatch_id 0
		.amdhsa_user_sgpr_flat_scratch_init 0
		.amdhsa_user_sgpr_kernarg_preload_length 0
		.amdhsa_user_sgpr_kernarg_preload_offset 0
		.amdhsa_user_sgpr_private_segment_size 0
		.amdhsa_uses_dynamic_stack 0
		.amdhsa_system_sgpr_private_segment_wavefront_offset 0
		.amdhsa_system_sgpr_workgroup_id_x 1
		.amdhsa_system_sgpr_workgroup_id_y 0
		.amdhsa_system_sgpr_workgroup_id_z 1
		.amdhsa_system_sgpr_workgroup_info 0
		.amdhsa_system_vgpr_workitem_id 0
		.amdhsa_next_free_vgpr 19
		.amdhsa_next_free_sgpr 36
		.amdhsa_accum_offset 20
		.amdhsa_reserve_vcc 1
		.amdhsa_reserve_flat_scratch 0
		.amdhsa_float_round_mode_32 0
		.amdhsa_float_round_mode_16_64 0
		.amdhsa_float_denorm_mode_32 3
		.amdhsa_float_denorm_mode_16_64 3
		.amdhsa_dx10_clamp 1
		.amdhsa_ieee_mode 1
		.amdhsa_fp16_overflow 0
		.amdhsa_tg_split 0
		.amdhsa_exception_fp_ieee_invalid_op 0
		.amdhsa_exception_fp_denorm_src 0
		.amdhsa_exception_fp_ieee_div_zero 0
		.amdhsa_exception_fp_ieee_overflow 0
		.amdhsa_exception_fp_ieee_underflow 0
		.amdhsa_exception_fp_ieee_inexact 0
		.amdhsa_exception_int_div_zero 0
	.end_amdhsa_kernel
	.section	.text._ZL20rocblas_tpmvn_kernelILi512EPKPK19rocblas_complex_numIfEPKPS1_S6_EvbbiT0_llT1_lllT2_li,"axG",@progbits,_ZL20rocblas_tpmvn_kernelILi512EPKPK19rocblas_complex_numIfEPKPS1_S6_EvbbiT0_llT1_lllT2_li,comdat
.Lfunc_end18:
	.size	_ZL20rocblas_tpmvn_kernelILi512EPKPK19rocblas_complex_numIfEPKPS1_S6_EvbbiT0_llT1_lllT2_li, .Lfunc_end18-_ZL20rocblas_tpmvn_kernelILi512EPKPK19rocblas_complex_numIfEPKPS1_S6_EvbbiT0_llT1_lllT2_li
                                        ; -- End function
	.section	.AMDGPU.csdata,"",@progbits
; Kernel info:
; codeLenInByte = 1128
; NumSgprs: 40
; NumVgprs: 19
; NumAgprs: 0
; TotalNumVgprs: 19
; ScratchSize: 0
; MemoryBound: 0
; FloatMode: 240
; IeeeMode: 1
; LDSByteSize: 0 bytes/workgroup (compile time only)
; SGPRBlocks: 4
; VGPRBlocks: 2
; NumSGPRsForWavesPerEU: 40
; NumVGPRsForWavesPerEU: 19
; AccumOffset: 20
; Occupancy: 8
; WaveLimiterHint : 1
; COMPUTE_PGM_RSRC2:SCRATCH_EN: 0
; COMPUTE_PGM_RSRC2:USER_SGPR: 6
; COMPUTE_PGM_RSRC2:TRAP_HANDLER: 0
; COMPUTE_PGM_RSRC2:TGID_X_EN: 1
; COMPUTE_PGM_RSRC2:TGID_Y_EN: 0
; COMPUTE_PGM_RSRC2:TGID_Z_EN: 1
; COMPUTE_PGM_RSRC2:TIDIG_COMP_CNT: 0
; COMPUTE_PGM_RSRC3_GFX90A:ACCUM_OFFSET: 4
; COMPUTE_PGM_RSRC3_GFX90A:TG_SPLIT: 0
	.section	.text._ZL20rocblas_tpmvt_kernelILi512EPKPK19rocblas_complex_numIfEPKPS1_S6_EvbbiT0_llT1_lllT2_li,"axG",@progbits,_ZL20rocblas_tpmvt_kernelILi512EPKPK19rocblas_complex_numIfEPKPS1_S6_EvbbiT0_llT1_lllT2_li,comdat
	.globl	_ZL20rocblas_tpmvt_kernelILi512EPKPK19rocblas_complex_numIfEPKPS1_S6_EvbbiT0_llT1_lllT2_li ; -- Begin function _ZL20rocblas_tpmvt_kernelILi512EPKPK19rocblas_complex_numIfEPKPS1_S6_EvbbiT0_llT1_lllT2_li
	.p2align	8
	.type	_ZL20rocblas_tpmvt_kernelILi512EPKPK19rocblas_complex_numIfEPKPS1_S6_EvbbiT0_llT1_lllT2_li,@function
_ZL20rocblas_tpmvt_kernelILi512EPKPK19rocblas_complex_numIfEPKPS1_S6_EvbbiT0_llT1_lllT2_li: ; @_ZL20rocblas_tpmvt_kernelILi512EPKPK19rocblas_complex_numIfEPKPS1_S6_EvbbiT0_llT1_lllT2_li
; %bb.0:
	s_load_dword s0, s[4:5], 0x64
	s_load_dwordx2 s[12:13], s[4:5], 0x0
	s_waitcnt lgkmcnt(0)
	s_and_b32 s0, s0, 0xffff
	s_mul_i32 s6, s6, s0
	v_add_u32_e32 v0, s6, v0
	v_cmp_gt_i32_e32 vcc, s13, v0
	s_and_saveexec_b64 s[0:1], vcc
	s_cbranch_execz .LBB19_18
; %bb.1:
	s_mov_b32 s8, s7
	s_load_dword s10, s[4:5], 0x0
	s_load_dwordx4 s[0:3], s[4:5], 0x8
	s_load_dwordx2 s[6:7], s[4:5], 0x30
	s_mov_b32 s9, 0
	v_ashrrev_i32_e32 v1, 31, v0
	s_waitcnt lgkmcnt(0)
	s_and_b32 s26, s10, 1
	s_bitcmp1_b32 s12, 8
	s_cselect_b64 s[10:11], -1, 0
	s_lshl_b64 s[16:17], s[8:9], 3
	s_xor_b64 s[24:25], s[10:11], -1
	s_add_u32 s0, s0, s16
	s_addc_u32 s1, s1, s17
	s_load_dwordx2 s[14:15], s[0:1], 0x0
	s_load_dwordx4 s[20:23], s[4:5], 0x20
	s_lshl_b64 s[18:19], s[2:3], 3
	v_mul_lo_u32 v4, v0, s7
	v_mul_lo_u32 v5, v1, s6
	s_waitcnt lgkmcnt(0)
	s_add_u32 s9, s14, s18
	s_addc_u32 s12, s15, s19
	s_add_u32 s0, s20, s16
	s_addc_u32 s1, s21, s17
	s_load_dwordx2 s[2:3], s[0:1], 0x0
	v_mad_u64_u32 v[2:3], s[0:1], v0, s6, 0
	s_lshl_b64 s[10:11], s[22:23], 3
	v_add3_u32 v3, v3, v4, v5
	s_waitcnt lgkmcnt(0)
	s_add_u32 s0, s2, s10
	s_addc_u32 s1, s3, s11
	v_lshlrev_b64 v[2:3], 3, v[2:3]
	v_mov_b32_e32 v4, s1
	v_add_co_u32_e32 v2, vcc, s0, v2
	v_addc_co_u32_e32 v3, vcc, v4, v3, vcc
	global_load_dwordx2 v[4:5], v[2:3], off
	v_cndmask_b32_e64 v2, 0, 1, s[24:25]
	s_mov_b64 s[16:17], -1
	s_cmp_eq_u32 s26, 0
	v_cmp_ne_u32_e64 s[0:1], 1, v2
	s_cbranch_scc0 .LBB19_9
; %bb.2:
	s_and_b64 vcc, exec, s[0:1]
	s_waitcnt vmcnt(0)
	v_mov_b32_e32 v2, v4
	v_mov_b32_e32 v3, v5
	s_cbranch_vccnz .LBB19_4
; %bb.3:
	v_add_co_u32_e32 v6, vcc, -1, v0
	v_addc_co_u32_e32 v7, vcc, -1, v1, vcc
	v_mul_lo_u32 v8, v7, v0
	v_mul_lo_u32 v9, v6, v1
	v_mad_u64_u32 v[6:7], s[16:17], v6, v0, 0
	v_add3_u32 v7, v7, v9, v8
	v_mad_i64_i32 v[2:3], s[16:17], v0, s13, 0
	v_lshrrev_b64 v[6:7], 1, v[6:7]
	v_sub_co_u32_e32 v2, vcc, v2, v6
	v_subb_co_u32_e32 v3, vcc, v3, v7, vcc
	v_lshlrev_b64 v[2:3], 3, v[2:3]
	v_mov_b32_e32 v6, s12
	v_add_co_u32_e32 v2, vcc, s9, v2
	v_addc_co_u32_e32 v3, vcc, v6, v3, vcc
	global_load_dwordx2 v[6:7], v[2:3], off
	s_waitcnt vmcnt(0)
	v_mul_f32_e32 v2, v5, v7
	v_mul_f32_e32 v3, v4, v7
	v_fma_f32 v2, v4, v6, -v2
	v_fmac_f32_e32 v3, v5, v6
.LBB19_4:
	v_add_u32_e32 v6, 1, v0
	v_cmp_gt_i32_e32 vcc, s13, v6
	s_and_saveexec_b64 s[16:17], vcc
	s_cbranch_execz .LBB19_8
; %bb.5:
	v_add_co_u32_e32 v7, vcc, -1, v0
	v_addc_co_u32_e32 v8, vcc, -1, v1, vcc
	v_mul_lo_u32 v8, v8, v0
	v_mul_lo_u32 v9, v7, v1
	v_mad_u64_u32 v[10:11], s[20:21], v7, v0, 0
	v_ashrrev_i32_e32 v7, 31, v6
	s_ashr_i32 s23, s13, 31
	v_add3_u32 v11, v11, v9, v8
	v_mul_lo_u32 v12, s7, v6
	v_mul_lo_u32 v13, s6, v7
	v_mad_u64_u32 v[8:9], s[20:21], s6, v6, 0
	v_add3_u32 v9, v9, v13, v12
	s_add_u32 s20, s2, s10
	s_mov_b32 s22, s13
	v_lshlrev_b64 v[8:9], 3, v[8:9]
	s_addc_u32 s21, s3, s11
	v_mov_b32_e32 v12, s21
	v_add_co_u32_e32 v8, vcc, s20, v8
	s_lshl_b64 s[20:21], s[6:7], 3
	s_lshl_b64 s[22:23], s[22:23], 3
	s_add_u32 s22, s22, -8
	v_addc_co_u32_e32 v9, vcc, v12, v9, vcc
	s_addc_u32 s23, s23, -1
	v_pk_mov_b32 v[12:13], s[18:19], s[18:19] op_sel:[0,1]
	v_add_co_u32_e32 v8, vcc, 4, v8
	v_mad_u64_u32 v[12:13], s[18:19], s22, v0, v[12:13]
	v_mul_lo_u32 v14, s22, v1
	v_mul_lo_u32 v15, s23, v0
	v_addc_co_u32_e32 v9, vcc, 0, v9, vcc
	v_add3_u32 v13, v15, v13, v14
	v_lshlrev_b64 v[14:15], 3, v[6:7]
	v_add_co_u32_e32 v7, vcc, v12, v14
	v_lshlrev_b64 v[10:11], 2, v[10:11]
	v_addc_co_u32_e32 v12, vcc, v13, v15, vcc
	v_and_b32_e32 v10, -8, v10
	v_sub_co_u32_e32 v7, vcc, v7, v10
	v_subb_co_u32_e32 v11, vcc, v12, v11, vcc
	v_mov_b32_e32 v12, s15
	v_add_co_u32_e32 v10, vcc, s14, v7
	v_addc_co_u32_e32 v11, vcc, v12, v11, vcc
	s_mov_b64 s[14:15], 0
	v_mov_b32_e32 v7, s21
.LBB19_6:                               ; =>This Inner Loop Header: Depth=1
	global_load_dwordx2 v[12:13], v[10:11], off
	global_load_dwordx2 v[14:15], v[8:9], off offset:-4
	v_add_co_u32_e32 v8, vcc, s20, v8
	v_addc_co_u32_e32 v9, vcc, v9, v7, vcc
	v_add_co_u32_e32 v10, vcc, 8, v10
	v_add_u32_e32 v6, 1, v6
	v_addc_co_u32_e32 v11, vcc, 0, v11, vcc
	v_cmp_le_i32_e32 vcc, s13, v6
	s_or_b64 s[14:15], vcc, s[14:15]
	s_waitcnt vmcnt(0)
	v_mul_f32_e32 v16, v15, v13
	v_mul_f32_e32 v13, v14, v13
	v_fma_f32 v14, v14, v12, -v16
	v_fmac_f32_e32 v13, v15, v12
	v_add_f32_e32 v2, v2, v14
	v_add_f32_e32 v3, v3, v13
	s_andn2_b64 exec, exec, s[14:15]
	s_cbranch_execnz .LBB19_6
; %bb.7:
	s_or_b64 exec, exec, s[14:15]
.LBB19_8:
	s_or_b64 exec, exec, s[16:17]
	s_branch .LBB19_17
.LBB19_9:
                                        ; implicit-def: $vgpr3
	s_and_b64 vcc, exec, s[16:17]
	s_cbranch_vccz .LBB19_17
; %bb.10:
	s_and_b64 vcc, exec, s[0:1]
	v_add_u32_e32 v6, 1, v0
	s_cbranch_vccnz .LBB19_12
; %bb.11:
	v_mad_i64_i32 v[2:3], s[0:1], v6, v0, 0
	v_lshlrev_b64 v[2:3], 2, v[2:3]
	v_and_b32_e32 v2, -8, v2
	v_mov_b32_e32 v7, s12
	v_add_co_u32_e32 v8, vcc, s9, v2
	v_addc_co_u32_e32 v7, vcc, v7, v3, vcc
	v_lshlrev_b64 v[2:3], 3, v[0:1]
	v_add_co_u32_e32 v2, vcc, v8, v2
	v_addc_co_u32_e32 v3, vcc, v7, v3, vcc
	global_load_dwordx2 v[8:9], v[2:3], off
	s_waitcnt vmcnt(0)
	v_pk_mul_f32 v[10:11], v[4:5], v[8:9]
	v_mul_f32_e32 v3, v5, v8
	v_sub_f32_e32 v2, v10, v11
	v_fmac_f32_e32 v3, v4, v9
	v_cmp_lt_i32_e32 vcc, 0, v0
	s_and_saveexec_b64 s[0:1], vcc
	s_cbranch_execnz .LBB19_13
	s_branch .LBB19_16
.LBB19_12:
	s_waitcnt vmcnt(0)
	v_mov_b32_e32 v2, v4
	v_mov_b32_e32 v3, v5
	v_cmp_lt_i32_e32 vcc, 0, v0
	s_and_saveexec_b64 s[0:1], vcc
	s_cbranch_execz .LBB19_16
.LBB19_13:
	v_mad_u64_u32 v[4:5], s[14:15], v6, v0, 0
	v_mov_b32_e32 v8, v5
	v_mad_u64_u32 v[6:7], s[14:15], v6, v1, v[8:9]
	v_mov_b32_e32 v5, v6
	v_lshlrev_b64 v[4:5], 2, v[4:5]
	s_add_u32 s2, s2, s10
	v_and_b32_e32 v4, -8, v4
	s_addc_u32 s3, s3, s11
	v_mov_b32_e32 v6, s12
	v_add_co_u32_e32 v4, vcc, s9, v4
	s_add_u32 s9, s2, 4
	v_addc_co_u32_e32 v5, vcc, v6, v5, vcc
	s_addc_u32 s10, s3, 0
	s_lshl_b64 s[6:7], s[6:7], 3
	s_mov_b64 s[2:3], 0
	v_mov_b32_e32 v6, v0
.LBB19_14:                              ; =>This Inner Loop Header: Depth=1
	global_load_dwordx2 v[8:9], v[4:5], off
	s_add_u32 s12, s9, -4
	s_addc_u32 s13, s10, -1
	s_load_dwordx2 s[12:13], s[12:13], 0x0
	v_add_co_u32_e32 v4, vcc, 8, v4
	v_add_u32_e32 v6, -1, v6
	v_addc_co_u32_e32 v5, vcc, 0, v5, vcc
	s_add_u32 s9, s9, s6
	v_cmp_eq_u32_e32 vcc, 0, v6
	s_addc_u32 s10, s10, s7
	s_or_b64 s[2:3], vcc, s[2:3]
	s_waitcnt vmcnt(0) lgkmcnt(0)
	v_mul_f32_e32 v7, s13, v9
	v_mul_f32_e32 v9, s12, v9
	v_fma_f32 v7, s12, v8, -v7
	v_fmac_f32_e32 v9, s13, v8
	v_add_f32_e32 v2, v2, v7
	v_add_f32_e32 v3, v3, v9
	s_andn2_b64 exec, exec, s[2:3]
	s_cbranch_execnz .LBB19_14
; %bb.15:
	s_or_b64 exec, exec, s[2:3]
.LBB19_16:
	s_or_b64 exec, exec, s[0:1]
.LBB19_17:
	s_load_dwordx4 s[0:3], s[4:5], 0x40
	v_lshlrev_b64 v[0:1], 3, v[0:1]
	s_waitcnt lgkmcnt(0)
	s_mul_i32 s3, s8, s3
	s_mul_hi_u32 s4, s8, s2
	s_mul_i32 s2, s8, s2
	s_add_i32 s3, s4, s3
	s_lshl_b64 s[2:3], s[2:3], 3
	s_add_u32 s0, s0, s2
	s_addc_u32 s1, s1, s3
	s_waitcnt vmcnt(0)
	v_mov_b32_e32 v4, s1
	v_add_co_u32_e32 v0, vcc, s0, v0
	v_addc_co_u32_e32 v1, vcc, v4, v1, vcc
	global_store_dwordx2 v[0:1], v[2:3], off
.LBB19_18:
	s_endpgm
	.section	.rodata,"a",@progbits
	.p2align	6, 0x0
	.amdhsa_kernel _ZL20rocblas_tpmvt_kernelILi512EPKPK19rocblas_complex_numIfEPKPS1_S6_EvbbiT0_llT1_lllT2_li
		.amdhsa_group_segment_fixed_size 0
		.amdhsa_private_segment_fixed_size 0
		.amdhsa_kernarg_size 344
		.amdhsa_user_sgpr_count 6
		.amdhsa_user_sgpr_private_segment_buffer 1
		.amdhsa_user_sgpr_dispatch_ptr 0
		.amdhsa_user_sgpr_queue_ptr 0
		.amdhsa_user_sgpr_kernarg_segment_ptr 1
		.amdhsa_user_sgpr_dispatch_id 0
		.amdhsa_user_sgpr_flat_scratch_init 0
		.amdhsa_user_sgpr_kernarg_preload_length 0
		.amdhsa_user_sgpr_kernarg_preload_offset 0
		.amdhsa_user_sgpr_private_segment_size 0
		.amdhsa_uses_dynamic_stack 0
		.amdhsa_system_sgpr_private_segment_wavefront_offset 0
		.amdhsa_system_sgpr_workgroup_id_x 1
		.amdhsa_system_sgpr_workgroup_id_y 0
		.amdhsa_system_sgpr_workgroup_id_z 1
		.amdhsa_system_sgpr_workgroup_info 0
		.amdhsa_system_vgpr_workitem_id 0
		.amdhsa_next_free_vgpr 17
		.amdhsa_next_free_sgpr 27
		.amdhsa_accum_offset 20
		.amdhsa_reserve_vcc 1
		.amdhsa_reserve_flat_scratch 0
		.amdhsa_float_round_mode_32 0
		.amdhsa_float_round_mode_16_64 0
		.amdhsa_float_denorm_mode_32 3
		.amdhsa_float_denorm_mode_16_64 3
		.amdhsa_dx10_clamp 1
		.amdhsa_ieee_mode 1
		.amdhsa_fp16_overflow 0
		.amdhsa_tg_split 0
		.amdhsa_exception_fp_ieee_invalid_op 0
		.amdhsa_exception_fp_denorm_src 0
		.amdhsa_exception_fp_ieee_div_zero 0
		.amdhsa_exception_fp_ieee_overflow 0
		.amdhsa_exception_fp_ieee_underflow 0
		.amdhsa_exception_fp_ieee_inexact 0
		.amdhsa_exception_int_div_zero 0
	.end_amdhsa_kernel
	.section	.text._ZL20rocblas_tpmvt_kernelILi512EPKPK19rocblas_complex_numIfEPKPS1_S6_EvbbiT0_llT1_lllT2_li,"axG",@progbits,_ZL20rocblas_tpmvt_kernelILi512EPKPK19rocblas_complex_numIfEPKPS1_S6_EvbbiT0_llT1_lllT2_li,comdat
.Lfunc_end19:
	.size	_ZL20rocblas_tpmvt_kernelILi512EPKPK19rocblas_complex_numIfEPKPS1_S6_EvbbiT0_llT1_lllT2_li, .Lfunc_end19-_ZL20rocblas_tpmvt_kernelILi512EPKPK19rocblas_complex_numIfEPKPS1_S6_EvbbiT0_llT1_lllT2_li
                                        ; -- End function
	.section	.AMDGPU.csdata,"",@progbits
; Kernel info:
; codeLenInByte = 1140
; NumSgprs: 31
; NumVgprs: 17
; NumAgprs: 0
; TotalNumVgprs: 17
; ScratchSize: 0
; MemoryBound: 0
; FloatMode: 240
; IeeeMode: 1
; LDSByteSize: 0 bytes/workgroup (compile time only)
; SGPRBlocks: 3
; VGPRBlocks: 2
; NumSGPRsForWavesPerEU: 31
; NumVGPRsForWavesPerEU: 17
; AccumOffset: 20
; Occupancy: 8
; WaveLimiterHint : 1
; COMPUTE_PGM_RSRC2:SCRATCH_EN: 0
; COMPUTE_PGM_RSRC2:USER_SGPR: 6
; COMPUTE_PGM_RSRC2:TRAP_HANDLER: 0
; COMPUTE_PGM_RSRC2:TGID_X_EN: 1
; COMPUTE_PGM_RSRC2:TGID_Y_EN: 0
; COMPUTE_PGM_RSRC2:TGID_Z_EN: 1
; COMPUTE_PGM_RSRC2:TIDIG_COMP_CNT: 0
; COMPUTE_PGM_RSRC3_GFX90A:ACCUM_OFFSET: 4
; COMPUTE_PGM_RSRC3_GFX90A:TG_SPLIT: 0
	.section	.text._ZL20rocblas_tpmvc_kernelILi512EPKPK19rocblas_complex_numIfEPKPS1_S6_EvbbiT0_llT1_lllT2_li,"axG",@progbits,_ZL20rocblas_tpmvc_kernelILi512EPKPK19rocblas_complex_numIfEPKPS1_S6_EvbbiT0_llT1_lllT2_li,comdat
	.globl	_ZL20rocblas_tpmvc_kernelILi512EPKPK19rocblas_complex_numIfEPKPS1_S6_EvbbiT0_llT1_lllT2_li ; -- Begin function _ZL20rocblas_tpmvc_kernelILi512EPKPK19rocblas_complex_numIfEPKPS1_S6_EvbbiT0_llT1_lllT2_li
	.p2align	8
	.type	_ZL20rocblas_tpmvc_kernelILi512EPKPK19rocblas_complex_numIfEPKPS1_S6_EvbbiT0_llT1_lllT2_li,@function
_ZL20rocblas_tpmvc_kernelILi512EPKPK19rocblas_complex_numIfEPKPS1_S6_EvbbiT0_llT1_lllT2_li: ; @_ZL20rocblas_tpmvc_kernelILi512EPKPK19rocblas_complex_numIfEPKPS1_S6_EvbbiT0_llT1_lllT2_li
; %bb.0:
	s_load_dword s0, s[4:5], 0x64
	s_load_dwordx2 s[10:11], s[4:5], 0x0
	s_waitcnt lgkmcnt(0)
	s_and_b32 s0, s0, 0xffff
	s_mul_i32 s6, s6, s0
	v_add_u32_e32 v0, s6, v0
	v_cmp_gt_i32_e32 vcc, s11, v0
	s_and_saveexec_b64 s[0:1], vcc
	s_cbranch_execz .LBB20_18
; %bb.1:
	s_mov_b32 s8, s7
	s_load_dword s12, s[4:5], 0x0
	s_load_dwordx4 s[0:3], s[4:5], 0x8
	s_load_dwordx2 s[6:7], s[4:5], 0x30
	s_mov_b32 s9, 0
	v_ashrrev_i32_e32 v1, 31, v0
	s_waitcnt lgkmcnt(0)
	s_and_b32 s26, s12, 1
	s_bitcmp1_b32 s10, 8
	s_cselect_b64 s[12:13], -1, 0
	s_lshl_b64 s[14:15], s[8:9], 3
	s_xor_b64 s[24:25], s[12:13], -1
	s_add_u32 s0, s0, s14
	s_addc_u32 s1, s1, s15
	s_load_dwordx2 s[12:13], s[0:1], 0x0
	s_load_dwordx4 s[20:23], s[4:5], 0x20
	s_lshl_b64 s[16:17], s[2:3], 3
	v_mul_lo_u32 v4, v0, s7
	v_mul_lo_u32 v5, v1, s6
	s_waitcnt lgkmcnt(0)
	s_add_u32 s9, s12, s16
	s_addc_u32 s10, s13, s17
	s_add_u32 s0, s20, s14
	s_addc_u32 s1, s21, s15
	s_load_dwordx2 s[18:19], s[0:1], 0x0
	v_mad_u64_u32 v[2:3], s[0:1], v0, s6, 0
	s_lshl_b64 s[20:21], s[22:23], 3
	v_add3_u32 v3, v3, v4, v5
	s_waitcnt lgkmcnt(0)
	s_add_u32 s2, s18, s20
	s_addc_u32 s3, s19, s21
	v_lshlrev_b64 v[2:3], 3, v[2:3]
	v_mov_b32_e32 v4, s3
	v_add_co_u32_e32 v2, vcc, s2, v2
	v_addc_co_u32_e32 v3, vcc, v4, v3, vcc
	global_load_dwordx2 v[4:5], v[2:3], off
	v_cndmask_b32_e64 v2, 0, 1, s[24:25]
	s_mov_b64 s[14:15], -1
	s_cmp_eq_u32 s26, 0
	v_cmp_ne_u32_e64 s[0:1], 1, v2
	s_cbranch_scc0 .LBB20_9
; %bb.2:
	s_and_b64 vcc, exec, s[0:1]
	s_waitcnt vmcnt(0)
	v_mov_b32_e32 v2, v4
	v_mov_b32_e32 v3, v5
	s_cbranch_vccnz .LBB20_4
; %bb.3:
	v_add_co_u32_e32 v6, vcc, -1, v0
	v_addc_co_u32_e32 v7, vcc, -1, v1, vcc
	v_mul_lo_u32 v8, v7, v0
	v_mul_lo_u32 v9, v6, v1
	v_mad_u64_u32 v[6:7], s[14:15], v6, v0, 0
	v_add3_u32 v7, v7, v9, v8
	v_mad_i64_i32 v[2:3], s[14:15], v0, s11, 0
	v_lshrrev_b64 v[6:7], 1, v[6:7]
	v_sub_co_u32_e32 v2, vcc, v2, v6
	v_subb_co_u32_e32 v3, vcc, v3, v7, vcc
	v_lshlrev_b64 v[2:3], 3, v[2:3]
	v_mov_b32_e32 v6, s10
	v_add_co_u32_e32 v2, vcc, s9, v2
	v_addc_co_u32_e32 v3, vcc, v6, v3, vcc
	global_load_dwordx2 v[6:7], v[2:3], off
	s_waitcnt vmcnt(0)
	v_mul_f32_e32 v2, v5, v7
	v_mul_f32_e32 v3, v4, v7
	v_fmac_f32_e32 v2, v4, v6
	v_fma_f32 v3, v5, v6, -v3
.LBB20_4:
	v_add_u32_e32 v6, 1, v0
	v_cmp_gt_i32_e32 vcc, s11, v6
	s_and_saveexec_b64 s[14:15], vcc
	s_cbranch_execz .LBB20_8
; %bb.5:
	v_add_co_u32_e32 v7, vcc, -1, v0
	v_addc_co_u32_e32 v8, vcc, -1, v1, vcc
	v_mul_lo_u32 v8, v8, v0
	v_mul_lo_u32 v9, v7, v1
	v_mad_u64_u32 v[10:11], s[24:25], v7, v0, 0
	v_ashrrev_i32_e32 v7, 31, v6
	s_ashr_i32 s23, s11, 31
	v_add3_u32 v11, v11, v9, v8
	v_mul_lo_u32 v12, s7, v6
	v_mul_lo_u32 v13, s6, v7
	v_mad_u64_u32 v[8:9], s[24:25], s6, v6, 0
	v_add3_u32 v9, v9, v13, v12
	s_add_u32 s18, s18, s20
	s_mov_b32 s22, s11
	v_lshlrev_b64 v[8:9], 3, v[8:9]
	s_addc_u32 s19, s19, s21
	v_mov_b32_e32 v12, s19
	v_add_co_u32_e32 v8, vcc, s18, v8
	s_lshl_b64 s[18:19], s[6:7], 3
	s_lshl_b64 s[20:21], s[22:23], 3
	s_add_u32 s20, s20, -8
	v_addc_co_u32_e32 v9, vcc, v12, v9, vcc
	s_addc_u32 s21, s21, -1
	v_pk_mov_b32 v[12:13], s[16:17], s[16:17] op_sel:[0,1]
	v_mad_u64_u32 v[12:13], s[16:17], s20, v0, v[12:13]
	v_mul_lo_u32 v14, s20, v1
	v_mul_lo_u32 v15, s21, v0
	v_add3_u32 v13, v15, v13, v14
	v_lshlrev_b64 v[14:15], 3, v[6:7]
	v_add_co_u32_e32 v7, vcc, v12, v14
	v_lshlrev_b64 v[10:11], 2, v[10:11]
	v_addc_co_u32_e32 v12, vcc, v13, v15, vcc
	v_and_b32_e32 v10, -8, v10
	v_sub_co_u32_e32 v7, vcc, v7, v10
	v_subb_co_u32_e32 v11, vcc, v12, v11, vcc
	v_mov_b32_e32 v12, s13
	v_add_co_u32_e32 v10, vcc, s12, v7
	v_addc_co_u32_e32 v11, vcc, v12, v11, vcc
	s_mov_b64 s[12:13], 0
	v_mov_b32_e32 v7, s19
.LBB20_6:                               ; =>This Inner Loop Header: Depth=1
	global_load_dwordx2 v[12:13], v[10:11], off
	global_load_dwordx2 v[14:15], v[8:9], off
	v_add_co_u32_e32 v8, vcc, s18, v8
	v_addc_co_u32_e32 v9, vcc, v9, v7, vcc
	v_add_co_u32_e32 v10, vcc, 8, v10
	v_add_u32_e32 v6, 1, v6
	v_addc_co_u32_e32 v11, vcc, 0, v11, vcc
	v_cmp_le_i32_e32 vcc, s11, v6
	s_or_b64 s[12:13], vcc, s[12:13]
	s_waitcnt vmcnt(0)
	v_pk_mul_f32 v[16:17], v[12:13], v[14:15]
	v_mul_f32_e32 v12, v12, v15
	v_add_f32_e32 v15, v16, v17
	v_fma_f32 v12, -v13, v14, v12
	v_add_f32_e32 v2, v2, v15
	v_add_f32_e32 v3, v3, v12
	s_andn2_b64 exec, exec, s[12:13]
	s_cbranch_execnz .LBB20_6
; %bb.7:
	s_or_b64 exec, exec, s[12:13]
.LBB20_8:
	s_or_b64 exec, exec, s[14:15]
	s_branch .LBB20_17
.LBB20_9:
                                        ; implicit-def: $vgpr3
	s_and_b64 vcc, exec, s[14:15]
	s_cbranch_vccz .LBB20_17
; %bb.10:
	s_and_b64 vcc, exec, s[0:1]
	v_add_u32_e32 v6, 1, v0
	s_cbranch_vccnz .LBB20_12
; %bb.11:
	v_mad_i64_i32 v[2:3], s[0:1], v6, v0, 0
	v_lshlrev_b64 v[2:3], 2, v[2:3]
	v_and_b32_e32 v2, -8, v2
	v_mov_b32_e32 v7, s10
	v_add_co_u32_e32 v8, vcc, s9, v2
	v_addc_co_u32_e32 v7, vcc, v7, v3, vcc
	v_lshlrev_b64 v[2:3], 3, v[0:1]
	v_add_co_u32_e32 v2, vcc, v8, v2
	v_addc_co_u32_e32 v3, vcc, v7, v3, vcc
	global_load_dwordx2 v[2:3], v[2:3], off
	s_waitcnt vmcnt(0)
	v_pk_mul_f32 v[8:9], v[4:5], v[2:3]
	v_mul_f32_e32 v5, v5, v2
	v_add_f32_e32 v2, v8, v9
	v_fma_f32 v3, -v4, v3, v5
	v_cmp_lt_i32_e32 vcc, 0, v0
	s_and_saveexec_b64 s[0:1], vcc
	s_cbranch_execnz .LBB20_13
	s_branch .LBB20_16
.LBB20_12:
	s_waitcnt vmcnt(0)
	v_mov_b32_e32 v2, v4
	v_mov_b32_e32 v3, v5
	v_cmp_lt_i32_e32 vcc, 0, v0
	s_and_saveexec_b64 s[0:1], vcc
	s_cbranch_execz .LBB20_16
.LBB20_13:
	v_mad_u64_u32 v[4:5], s[12:13], v6, v0, 0
	v_mov_b32_e32 v8, v5
	v_mad_u64_u32 v[6:7], s[12:13], v6, v1, v[8:9]
	v_mov_b32_e32 v5, v6
	v_lshlrev_b64 v[4:5], 2, v[4:5]
	v_and_b32_e32 v4, -8, v4
	v_mov_b32_e32 v6, s10
	v_add_co_u32_e32 v4, vcc, s9, v4
	v_addc_co_u32_e32 v5, vcc, v6, v5, vcc
	s_lshl_b64 s[10:11], s[6:7], 3
	s_mov_b64 s[6:7], 0
	v_mov_b32_e32 v6, v0
.LBB20_14:                              ; =>This Inner Loop Header: Depth=1
	global_load_dwordx2 v[8:9], v[4:5], off
	s_load_dwordx2 s[12:13], s[2:3], 0x0
	v_add_co_u32_e32 v4, vcc, 8, v4
	v_add_u32_e32 v6, -1, v6
	v_addc_co_u32_e32 v5, vcc, 0, v5, vcc
	s_add_u32 s2, s2, s10
	s_addc_u32 s3, s3, s11
	v_cmp_eq_u32_e32 vcc, 0, v6
	s_or_b64 s[6:7], vcc, s[6:7]
	s_waitcnt vmcnt(0) lgkmcnt(0)
	v_pk_mul_f32 v[10:11], v[8:9], s[12:13]
	v_mul_f32_e32 v7, s13, v8
	v_add_f32_e32 v8, v10, v11
	v_fma_f32 v7, -v9, s12, v7
	v_add_f32_e32 v2, v2, v8
	v_add_f32_e32 v3, v3, v7
	s_andn2_b64 exec, exec, s[6:7]
	s_cbranch_execnz .LBB20_14
; %bb.15:
	s_or_b64 exec, exec, s[6:7]
.LBB20_16:
	s_or_b64 exec, exec, s[0:1]
.LBB20_17:
	s_load_dwordx4 s[0:3], s[4:5], 0x40
	v_lshlrev_b64 v[0:1], 3, v[0:1]
	s_waitcnt lgkmcnt(0)
	s_mul_i32 s3, s8, s3
	s_mul_hi_u32 s4, s8, s2
	s_mul_i32 s2, s8, s2
	s_add_i32 s3, s4, s3
	s_lshl_b64 s[2:3], s[2:3], 3
	s_add_u32 s0, s0, s2
	s_addc_u32 s1, s1, s3
	s_waitcnt vmcnt(0)
	v_mov_b32_e32 v4, s1
	v_add_co_u32_e32 v0, vcc, s0, v0
	v_addc_co_u32_e32 v1, vcc, v4, v1, vcc
	global_store_dwordx2 v[0:1], v[2:3], off
.LBB20_18:
	s_endpgm
	.section	.rodata,"a",@progbits
	.p2align	6, 0x0
	.amdhsa_kernel _ZL20rocblas_tpmvc_kernelILi512EPKPK19rocblas_complex_numIfEPKPS1_S6_EvbbiT0_llT1_lllT2_li
		.amdhsa_group_segment_fixed_size 0
		.amdhsa_private_segment_fixed_size 0
		.amdhsa_kernarg_size 344
		.amdhsa_user_sgpr_count 6
		.amdhsa_user_sgpr_private_segment_buffer 1
		.amdhsa_user_sgpr_dispatch_ptr 0
		.amdhsa_user_sgpr_queue_ptr 0
		.amdhsa_user_sgpr_kernarg_segment_ptr 1
		.amdhsa_user_sgpr_dispatch_id 0
		.amdhsa_user_sgpr_flat_scratch_init 0
		.amdhsa_user_sgpr_kernarg_preload_length 0
		.amdhsa_user_sgpr_kernarg_preload_offset 0
		.amdhsa_user_sgpr_private_segment_size 0
		.amdhsa_uses_dynamic_stack 0
		.amdhsa_system_sgpr_private_segment_wavefront_offset 0
		.amdhsa_system_sgpr_workgroup_id_x 1
		.amdhsa_system_sgpr_workgroup_id_y 0
		.amdhsa_system_sgpr_workgroup_id_z 1
		.amdhsa_system_sgpr_workgroup_info 0
		.amdhsa_system_vgpr_workitem_id 0
		.amdhsa_next_free_vgpr 18
		.amdhsa_next_free_sgpr 27
		.amdhsa_accum_offset 20
		.amdhsa_reserve_vcc 1
		.amdhsa_reserve_flat_scratch 0
		.amdhsa_float_round_mode_32 0
		.amdhsa_float_round_mode_16_64 0
		.amdhsa_float_denorm_mode_32 3
		.amdhsa_float_denorm_mode_16_64 3
		.amdhsa_dx10_clamp 1
		.amdhsa_ieee_mode 1
		.amdhsa_fp16_overflow 0
		.amdhsa_tg_split 0
		.amdhsa_exception_fp_ieee_invalid_op 0
		.amdhsa_exception_fp_denorm_src 0
		.amdhsa_exception_fp_ieee_div_zero 0
		.amdhsa_exception_fp_ieee_overflow 0
		.amdhsa_exception_fp_ieee_underflow 0
		.amdhsa_exception_fp_ieee_inexact 0
		.amdhsa_exception_int_div_zero 0
	.end_amdhsa_kernel
	.section	.text._ZL20rocblas_tpmvc_kernelILi512EPKPK19rocblas_complex_numIfEPKPS1_S6_EvbbiT0_llT1_lllT2_li,"axG",@progbits,_ZL20rocblas_tpmvc_kernelILi512EPKPK19rocblas_complex_numIfEPKPS1_S6_EvbbiT0_llT1_lllT2_li,comdat
.Lfunc_end20:
	.size	_ZL20rocblas_tpmvc_kernelILi512EPKPK19rocblas_complex_numIfEPKPS1_S6_EvbbiT0_llT1_lllT2_li, .Lfunc_end20-_ZL20rocblas_tpmvc_kernelILi512EPKPK19rocblas_complex_numIfEPKPS1_S6_EvbbiT0_llT1_lllT2_li
                                        ; -- End function
	.section	.AMDGPU.csdata,"",@progbits
; Kernel info:
; codeLenInByte = 1120
; NumSgprs: 31
; NumVgprs: 18
; NumAgprs: 0
; TotalNumVgprs: 18
; ScratchSize: 0
; MemoryBound: 0
; FloatMode: 240
; IeeeMode: 1
; LDSByteSize: 0 bytes/workgroup (compile time only)
; SGPRBlocks: 3
; VGPRBlocks: 2
; NumSGPRsForWavesPerEU: 31
; NumVGPRsForWavesPerEU: 18
; AccumOffset: 20
; Occupancy: 8
; WaveLimiterHint : 1
; COMPUTE_PGM_RSRC2:SCRATCH_EN: 0
; COMPUTE_PGM_RSRC2:USER_SGPR: 6
; COMPUTE_PGM_RSRC2:TRAP_HANDLER: 0
; COMPUTE_PGM_RSRC2:TGID_X_EN: 1
; COMPUTE_PGM_RSRC2:TGID_Y_EN: 0
; COMPUTE_PGM_RSRC2:TGID_Z_EN: 1
; COMPUTE_PGM_RSRC2:TIDIG_COMP_CNT: 0
; COMPUTE_PGM_RSRC3_GFX90A:ACCUM_OFFSET: 4
; COMPUTE_PGM_RSRC3_GFX90A:TG_SPLIT: 0
	.section	.text._ZL20rocblas_tpmvn_kernelILi512EPKPK19rocblas_complex_numIdEPKPS1_S6_EvbbiT0_llT1_lllT2_li,"axG",@progbits,_ZL20rocblas_tpmvn_kernelILi512EPKPK19rocblas_complex_numIdEPKPS1_S6_EvbbiT0_llT1_lllT2_li,comdat
	.globl	_ZL20rocblas_tpmvn_kernelILi512EPKPK19rocblas_complex_numIdEPKPS1_S6_EvbbiT0_llT1_lllT2_li ; -- Begin function _ZL20rocblas_tpmvn_kernelILi512EPKPK19rocblas_complex_numIdEPKPS1_S6_EvbbiT0_llT1_lllT2_li
	.p2align	8
	.type	_ZL20rocblas_tpmvn_kernelILi512EPKPK19rocblas_complex_numIdEPKPS1_S6_EvbbiT0_llT1_lllT2_li,@function
_ZL20rocblas_tpmvn_kernelILi512EPKPK19rocblas_complex_numIdEPKPS1_S6_EvbbiT0_llT1_lllT2_li: ; @_ZL20rocblas_tpmvn_kernelILi512EPKPK19rocblas_complex_numIdEPKPS1_S6_EvbbiT0_llT1_lllT2_li
; %bb.0:
	s_load_dword s0, s[4:5], 0x64
	s_load_dwordx2 s[10:11], s[4:5], 0x0
	s_waitcnt lgkmcnt(0)
	s_and_b32 s0, s0, 0xffff
	s_mul_i32 s6, s6, s0
	v_add_u32_e32 v8, s6, v0
	v_cmp_gt_i32_e32 vcc, s11, v8
	s_and_saveexec_b64 s[0:1], vcc
	s_cbranch_execz .LBB21_18
; %bb.1:
	s_mov_b32 s8, s7
	s_load_dword s12, s[4:5], 0x0
	s_load_dwordx4 s[0:3], s[4:5], 0x8
	s_load_dwordx2 s[6:7], s[4:5], 0x30
	s_mov_b32 s9, 0
	v_ashrrev_i32_e32 v9, 31, v8
	s_waitcnt lgkmcnt(0)
	s_and_b32 s24, s12, 1
	s_bitcmp1_b32 s10, 8
	s_cselect_b64 s[12:13], -1, 0
	s_lshl_b64 s[20:21], s[8:9], 3
	s_xor_b64 s[22:23], s[12:13], -1
	s_add_u32 s0, s0, s20
	s_addc_u32 s1, s1, s21
	s_load_dwordx2 s[16:17], s[0:1], 0x0
	s_load_dwordx4 s[12:15], s[4:5], 0x20
	s_lshl_b64 s[18:19], s[2:3], 4
	v_mul_lo_u32 v2, v8, s7
	v_mul_lo_u32 v3, v9, s6
	s_waitcnt lgkmcnt(0)
	s_add_u32 s9, s16, s18
	s_addc_u32 s10, s17, s19
	s_add_u32 s0, s12, s20
	s_addc_u32 s1, s13, s21
	s_load_dwordx2 s[2:3], s[0:1], 0x0
	v_mad_u64_u32 v[0:1], s[0:1], v8, s6, 0
	s_lshl_b64 s[12:13], s[14:15], 4
	v_add3_u32 v1, v1, v2, v3
	s_waitcnt lgkmcnt(0)
	s_add_u32 s0, s2, s12
	s_addc_u32 s1, s3, s13
	v_lshlrev_b64 v[0:1], 4, v[0:1]
	v_mov_b32_e32 v2, s1
	v_add_co_u32_e32 v0, vcc, s0, v0
	v_addc_co_u32_e32 v1, vcc, v2, v1, vcc
	global_load_dwordx4 v[0:3], v[0:1], off
	v_cndmask_b32_e64 v4, 0, 1, s[22:23]
	s_mov_b64 s[14:15], -1
	s_cmp_eq_u32 s24, 0
	v_cmp_ne_u32_e64 s[0:1], 1, v4
	s_cbranch_scc0 .LBB21_9
; %bb.2:
	s_and_b64 vcc, exec, s[0:1]
	s_waitcnt vmcnt(0)
	v_pk_mov_b32 v[4:5], v[0:1], v[0:1] op_sel:[0,1]
	v_pk_mov_b32 v[6:7], v[2:3], v[2:3] op_sel:[0,1]
	s_cbranch_vccnz .LBB21_4
; %bb.3:
	v_add_co_u32_e32 v6, vcc, -1, v8
	v_addc_co_u32_e32 v7, vcc, -1, v9, vcc
	v_mul_lo_u32 v10, v7, v8
	v_mul_lo_u32 v11, v6, v9
	v_mad_u64_u32 v[6:7], s[14:15], v6, v8, 0
	v_add3_u32 v7, v7, v11, v10
	v_mad_i64_i32 v[4:5], s[14:15], v8, s11, 0
	v_lshrrev_b64 v[6:7], 1, v[6:7]
	v_sub_co_u32_e32 v4, vcc, v4, v6
	v_subb_co_u32_e32 v5, vcc, v5, v7, vcc
	v_lshlrev_b64 v[4:5], 4, v[4:5]
	v_mov_b32_e32 v6, s10
	v_add_co_u32_e32 v4, vcc, s9, v4
	v_addc_co_u32_e32 v5, vcc, v6, v5, vcc
	global_load_dwordx4 v[10:13], v[4:5], off
	s_waitcnt vmcnt(0)
	v_mul_f64 v[4:5], v[2:3], v[12:13]
	v_mul_f64 v[6:7], v[0:1], v[12:13]
	v_fma_f64 v[4:5], v[0:1], v[10:11], -v[4:5]
	v_fmac_f64_e32 v[6:7], v[2:3], v[10:11]
.LBB21_4:
	v_cmp_lt_i32_e32 vcc, 0, v8
	s_and_saveexec_b64 s[14:15], vcc
	s_cbranch_execz .LBB21_8
; %bb.5:
	s_ashr_i32 s21, s11, 31
	s_add_u32 s16, s16, s18
	s_mov_b32 s20, s11
	v_lshlrev_b64 v[10:11], 4, v[8:9]
	s_addc_u32 s17, s17, s19
	v_mov_b32_e32 v12, s17
	v_add_co_u32_e32 v10, vcc, s16, v10
	s_lshl_b64 s[16:17], s[20:21], 4
	s_add_u32 s26, s16, -16
	s_addc_u32 s20, s17, -1
	s_add_u32 s16, s2, s12
	v_addc_co_u32_e32 v11, vcc, v12, v11, vcc
	s_addc_u32 s17, s3, s13
	v_add_co_u32_e32 v10, vcc, 8, v10
	s_add_u32 s27, s16, 8
	v_addc_co_u32_e32 v11, vcc, 0, v11, vcc
	s_addc_u32 s28, s17, 0
	s_lshl_b64 s[18:19], s[6:7], 4
	s_mov_b64 s[16:17], 0
	v_mov_b32_e32 v12, s20
	s_mov_b64 s[20:21], 0
	s_mov_b64 s[24:25], 0
	;; [unrolled: 1-line block ×3, first 2 shown]
.LBB21_6:                               ; =>This Inner Loop Header: Depth=1
	s_lshl_b64 s[30:31], s[20:21], 3
	s_and_b32 s29, s30, -16
	v_mov_b32_e32 v13, s31
	v_subrev_co_u32_e32 v14, vcc, s29, v10
	v_subb_co_u32_e32 v15, vcc, v11, v13, vcc
	global_load_dwordx4 v[14:17], v[14:15], off offset:-8
	s_add_u32 s30, s27, -8
	s_addc_u32 s31, s28, -1
	s_add_u32 s22, s22, 1
	s_load_dwordx4 s[36:39], s[30:31], 0x0
	s_addc_u32 s23, s23, 0
	s_add_u32 s30, s24, 2
	s_addc_u32 s31, s25, 0
	s_add_u32 s20, s20, s24
	v_add_co_u32_e32 v10, vcc, s26, v10
	s_addc_u32 s21, s21, s25
	v_addc_co_u32_e32 v11, vcc, v11, v12, vcc
	s_add_u32 s27, s27, s18
	v_cmp_eq_u32_e32 vcc, s22, v8
	s_addc_u32 s28, s28, s19
	s_mov_b64 s[24:25], s[30:31]
	s_or_b64 s[16:17], vcc, s[16:17]
	s_waitcnt vmcnt(0) lgkmcnt(0)
	v_mul_f64 v[18:19], s[38:39], v[16:17]
	v_mul_f64 v[16:17], s[36:37], v[16:17]
	v_fma_f64 v[18:19], s[36:37], v[14:15], -v[18:19]
	v_fmac_f64_e32 v[16:17], s[38:39], v[14:15]
	v_add_f64 v[4:5], v[4:5], v[18:19]
	v_add_f64 v[6:7], v[6:7], v[16:17]
	s_andn2_b64 exec, exec, s[16:17]
	s_cbranch_execnz .LBB21_6
; %bb.7:
	s_or_b64 exec, exec, s[16:17]
.LBB21_8:
	s_or_b64 exec, exec, s[14:15]
	s_branch .LBB21_17
.LBB21_9:
                                        ; implicit-def: $vgpr6_vgpr7
	s_and_b64 vcc, exec, s[14:15]
	s_cbranch_vccz .LBB21_17
; %bb.10:
	s_and_b64 vcc, exec, s[0:1]
	v_add_u32_e32 v4, 1, v8
	s_cbranch_vccnz .LBB21_12
; %bb.11:
	v_mad_i64_i32 v[6:7], s[0:1], v4, v8, 0
	v_lshlrev_b64 v[6:7], 3, v[6:7]
	v_and_b32_e32 v5, -16, v6
	v_mov_b32_e32 v6, s10
	v_add_co_u32_e32 v5, vcc, s9, v5
	v_addc_co_u32_e32 v10, vcc, v6, v7, vcc
	v_lshlrev_b64 v[6:7], 4, v[8:9]
	v_add_co_u32_e32 v6, vcc, v5, v6
	v_addc_co_u32_e32 v7, vcc, v10, v7, vcc
	global_load_dwordx4 v[10:13], v[6:7], off
	s_waitcnt vmcnt(0)
	v_mul_f64 v[6:7], v[2:3], v[12:13]
	v_mul_f64 v[12:13], v[0:1], v[12:13]
	v_fmac_f64_e32 v[12:13], v[2:3], v[10:11]
	v_fma_f64 v[0:1], v[0:1], v[10:11], -v[6:7]
	v_pk_mov_b32 v[2:3], v[12:13], v[12:13] op_sel:[0,1]
.LBB21_12:
	v_cmp_gt_i32_e32 vcc, s11, v4
	s_and_saveexec_b64 s[0:1], vcc
	s_cbranch_execz .LBB21_16
; %bb.13:
	v_lshlrev_b64 v[6:7], 4, v[8:9]
	v_mov_b32_e32 v5, s10
	v_add_co_u32_e32 v12, vcc, s9, v6
	v_addc_co_u32_e32 v13, vcc, v5, v7, vcc
	v_ashrrev_i32_e32 v5, 31, v4
	v_mul_lo_u32 v14, s7, v4
	v_mul_lo_u32 v15, s6, v5
	v_mad_u64_u32 v[10:11], s[14:15], s6, v4, 0
	v_add3_u32 v11, v11, v15, v14
	s_add_u32 s2, s2, s12
	v_lshlrev_b64 v[10:11], 4, v[10:11]
	s_addc_u32 s3, s3, s13
	v_mov_b32_e32 v14, s3
	v_add_co_u32_e32 v10, vcc, s2, v10
	v_addc_co_u32_e32 v11, vcc, v14, v11, vcc
	v_add_u32_e32 v6, 2, v8
	v_add_co_u32_e32 v10, vcc, 8, v10
	s_lshl_b64 s[6:7], s[6:7], 4
	v_ashrrev_i32_e32 v7, 31, v6
	v_addc_co_u32_e32 v11, vcc, 0, v11, vcc
	s_mov_b64 s[2:3], 0
	v_mov_b32_e32 v14, s7
.LBB21_14:                              ; =>This Inner Loop Header: Depth=1
	v_mul_lo_u32 v15, v7, v4
	v_mul_lo_u32 v22, v6, v5
	v_mad_u64_u32 v[20:21], s[12:13], v6, v4, 0
	v_add3_u32 v21, v21, v22, v15
	v_lshlrev_b64 v[20:21], 3, v[20:21]
	v_and_b32_e32 v15, -16, v20
	v_add_co_u32_e32 v20, vcc, v12, v15
	v_addc_co_u32_e32 v21, vcc, v13, v21, vcc
	global_load_dwordx4 v[16:19], v[10:11], off offset:-8
	v_add_co_u32_e32 v4, vcc, 1, v4
	global_load_dwordx4 v[20:23], v[20:21], off
	v_addc_co_u32_e32 v5, vcc, 0, v5, vcc
	v_add_co_u32_e32 v6, vcc, 1, v6
	v_addc_co_u32_e32 v7, vcc, 0, v7, vcc
	v_add_co_u32_e32 v10, vcc, s6, v10
	v_addc_co_u32_e32 v11, vcc, v11, v14, vcc
	v_cmp_le_i32_e32 vcc, s11, v4
	s_or_b64 s[2:3], vcc, s[2:3]
	s_waitcnt vmcnt(0)
	v_mul_f64 v[24:25], v[18:19], v[22:23]
	v_mul_f64 v[22:23], v[16:17], v[22:23]
	v_fma_f64 v[16:17], v[16:17], v[20:21], -v[24:25]
	v_fmac_f64_e32 v[22:23], v[18:19], v[20:21]
	v_add_f64 v[0:1], v[0:1], v[16:17]
	v_add_f64 v[2:3], v[2:3], v[22:23]
	s_andn2_b64 exec, exec, s[2:3]
	s_cbranch_execnz .LBB21_14
; %bb.15:
	s_or_b64 exec, exec, s[2:3]
.LBB21_16:
	s_or_b64 exec, exec, s[0:1]
	s_waitcnt vmcnt(0)
	v_pk_mov_b32 v[6:7], v[2:3], v[2:3] op_sel:[0,1]
	v_pk_mov_b32 v[4:5], v[0:1], v[0:1] op_sel:[0,1]
.LBB21_17:
	s_load_dwordx4 s[0:3], s[4:5], 0x40
	s_waitcnt vmcnt(0)
	v_lshlrev_b64 v[0:1], 4, v[8:9]
	s_waitcnt lgkmcnt(0)
	s_mul_i32 s3, s8, s3
	s_mul_hi_u32 s4, s8, s2
	s_mul_i32 s2, s8, s2
	s_add_i32 s3, s4, s3
	s_lshl_b64 s[2:3], s[2:3], 4
	s_add_u32 s0, s0, s2
	s_addc_u32 s1, s1, s3
	v_mov_b32_e32 v2, s1
	v_add_co_u32_e32 v0, vcc, s0, v0
	v_addc_co_u32_e32 v1, vcc, v2, v1, vcc
	global_store_dwordx4 v[0:1], v[4:7], off
.LBB21_18:
	s_endpgm
	.section	.rodata,"a",@progbits
	.p2align	6, 0x0
	.amdhsa_kernel _ZL20rocblas_tpmvn_kernelILi512EPKPK19rocblas_complex_numIdEPKPS1_S6_EvbbiT0_llT1_lllT2_li
		.amdhsa_group_segment_fixed_size 0
		.amdhsa_private_segment_fixed_size 0
		.amdhsa_kernarg_size 344
		.amdhsa_user_sgpr_count 6
		.amdhsa_user_sgpr_private_segment_buffer 1
		.amdhsa_user_sgpr_dispatch_ptr 0
		.amdhsa_user_sgpr_queue_ptr 0
		.amdhsa_user_sgpr_kernarg_segment_ptr 1
		.amdhsa_user_sgpr_dispatch_id 0
		.amdhsa_user_sgpr_flat_scratch_init 0
		.amdhsa_user_sgpr_kernarg_preload_length 0
		.amdhsa_user_sgpr_kernarg_preload_offset 0
		.amdhsa_user_sgpr_private_segment_size 0
		.amdhsa_uses_dynamic_stack 0
		.amdhsa_system_sgpr_private_segment_wavefront_offset 0
		.amdhsa_system_sgpr_workgroup_id_x 1
		.amdhsa_system_sgpr_workgroup_id_y 0
		.amdhsa_system_sgpr_workgroup_id_z 1
		.amdhsa_system_sgpr_workgroup_info 0
		.amdhsa_system_vgpr_workitem_id 0
		.amdhsa_next_free_vgpr 26
		.amdhsa_next_free_sgpr 40
		.amdhsa_accum_offset 28
		.amdhsa_reserve_vcc 1
		.amdhsa_reserve_flat_scratch 0
		.amdhsa_float_round_mode_32 0
		.amdhsa_float_round_mode_16_64 0
		.amdhsa_float_denorm_mode_32 3
		.amdhsa_float_denorm_mode_16_64 3
		.amdhsa_dx10_clamp 1
		.amdhsa_ieee_mode 1
		.amdhsa_fp16_overflow 0
		.amdhsa_tg_split 0
		.amdhsa_exception_fp_ieee_invalid_op 0
		.amdhsa_exception_fp_denorm_src 0
		.amdhsa_exception_fp_ieee_div_zero 0
		.amdhsa_exception_fp_ieee_overflow 0
		.amdhsa_exception_fp_ieee_underflow 0
		.amdhsa_exception_fp_ieee_inexact 0
		.amdhsa_exception_int_div_zero 0
	.end_amdhsa_kernel
	.section	.text._ZL20rocblas_tpmvn_kernelILi512EPKPK19rocblas_complex_numIdEPKPS1_S6_EvbbiT0_llT1_lllT2_li,"axG",@progbits,_ZL20rocblas_tpmvn_kernelILi512EPKPK19rocblas_complex_numIdEPKPS1_S6_EvbbiT0_llT1_lllT2_li,comdat
.Lfunc_end21:
	.size	_ZL20rocblas_tpmvn_kernelILi512EPKPK19rocblas_complex_numIdEPKPS1_S6_EvbbiT0_llT1_lllT2_li, .Lfunc_end21-_ZL20rocblas_tpmvn_kernelILi512EPKPK19rocblas_complex_numIdEPKPS1_S6_EvbbiT0_llT1_lllT2_li
                                        ; -- End function
	.section	.AMDGPU.csdata,"",@progbits
; Kernel info:
; codeLenInByte = 1192
; NumSgprs: 44
; NumVgprs: 26
; NumAgprs: 0
; TotalNumVgprs: 26
; ScratchSize: 0
; MemoryBound: 0
; FloatMode: 240
; IeeeMode: 1
; LDSByteSize: 0 bytes/workgroup (compile time only)
; SGPRBlocks: 5
; VGPRBlocks: 3
; NumSGPRsForWavesPerEU: 44
; NumVGPRsForWavesPerEU: 26
; AccumOffset: 28
; Occupancy: 8
; WaveLimiterHint : 1
; COMPUTE_PGM_RSRC2:SCRATCH_EN: 0
; COMPUTE_PGM_RSRC2:USER_SGPR: 6
; COMPUTE_PGM_RSRC2:TRAP_HANDLER: 0
; COMPUTE_PGM_RSRC2:TGID_X_EN: 1
; COMPUTE_PGM_RSRC2:TGID_Y_EN: 0
; COMPUTE_PGM_RSRC2:TGID_Z_EN: 1
; COMPUTE_PGM_RSRC2:TIDIG_COMP_CNT: 0
; COMPUTE_PGM_RSRC3_GFX90A:ACCUM_OFFSET: 6
; COMPUTE_PGM_RSRC3_GFX90A:TG_SPLIT: 0
	.section	.text._ZL20rocblas_tpmvt_kernelILi512EPKPK19rocblas_complex_numIdEPKPS1_S6_EvbbiT0_llT1_lllT2_li,"axG",@progbits,_ZL20rocblas_tpmvt_kernelILi512EPKPK19rocblas_complex_numIdEPKPS1_S6_EvbbiT0_llT1_lllT2_li,comdat
	.globl	_ZL20rocblas_tpmvt_kernelILi512EPKPK19rocblas_complex_numIdEPKPS1_S6_EvbbiT0_llT1_lllT2_li ; -- Begin function _ZL20rocblas_tpmvt_kernelILi512EPKPK19rocblas_complex_numIdEPKPS1_S6_EvbbiT0_llT1_lllT2_li
	.p2align	8
	.type	_ZL20rocblas_tpmvt_kernelILi512EPKPK19rocblas_complex_numIdEPKPS1_S6_EvbbiT0_llT1_lllT2_li,@function
_ZL20rocblas_tpmvt_kernelILi512EPKPK19rocblas_complex_numIdEPKPS1_S6_EvbbiT0_llT1_lllT2_li: ; @_ZL20rocblas_tpmvt_kernelILi512EPKPK19rocblas_complex_numIdEPKPS1_S6_EvbbiT0_llT1_lllT2_li
; %bb.0:
	s_load_dword s0, s[4:5], 0x64
	s_load_dwordx2 s[16:17], s[4:5], 0x0
	s_waitcnt lgkmcnt(0)
	s_and_b32 s0, s0, 0xffff
	s_mul_i32 s6, s6, s0
	v_add_u32_e32 v8, s6, v0
	v_cmp_gt_i32_e32 vcc, s17, v8
	s_and_saveexec_b64 s[0:1], vcc
	s_cbranch_execz .LBB22_18
; %bb.1:
	s_mov_b32 s8, s7
	s_load_dword s10, s[4:5], 0x0
	s_load_dwordx4 s[0:3], s[4:5], 0x8
	s_load_dwordx2 s[6:7], s[4:5], 0x30
	s_mov_b32 s9, 0
	v_ashrrev_i32_e32 v9, 31, v8
	s_waitcnt lgkmcnt(0)
	s_and_b32 s26, s10, 1
	s_bitcmp1_b32 s16, 8
	s_cselect_b64 s[10:11], -1, 0
	s_lshl_b64 s[12:13], s[8:9], 3
	s_xor_b64 s[24:25], s[10:11], -1
	s_add_u32 s0, s0, s12
	s_addc_u32 s1, s1, s13
	s_load_dwordx2 s[10:11], s[0:1], 0x0
	s_load_dwordx4 s[20:23], s[4:5], 0x20
	s_lshl_b64 s[14:15], s[2:3], 4
	v_mul_lo_u32 v2, v8, s7
	v_mul_lo_u32 v3, v9, s6
	s_waitcnt lgkmcnt(0)
	s_add_u32 s9, s10, s14
	s_addc_u32 s16, s11, s15
	s_add_u32 s0, s20, s12
	s_addc_u32 s1, s21, s13
	s_load_dwordx2 s[2:3], s[0:1], 0x0
	v_mad_u64_u32 v[0:1], s[0:1], v8, s6, 0
	s_lshl_b64 s[12:13], s[22:23], 4
	v_add3_u32 v1, v1, v2, v3
	s_waitcnt lgkmcnt(0)
	s_add_u32 s0, s2, s12
	s_addc_u32 s1, s3, s13
	v_lshlrev_b64 v[0:1], 4, v[0:1]
	v_mov_b32_e32 v2, s1
	v_add_co_u32_e32 v0, vcc, s0, v0
	v_addc_co_u32_e32 v1, vcc, v2, v1, vcc
	global_load_dwordx4 v[0:3], v[0:1], off
	v_cndmask_b32_e64 v4, 0, 1, s[24:25]
	s_mov_b64 s[18:19], -1
	s_cmp_eq_u32 s26, 0
	v_cmp_ne_u32_e64 s[0:1], 1, v4
	s_cbranch_scc0 .LBB22_9
; %bb.2:
	s_and_b64 vcc, exec, s[0:1]
	s_waitcnt vmcnt(0)
	v_pk_mov_b32 v[4:5], v[0:1], v[0:1] op_sel:[0,1]
	v_pk_mov_b32 v[6:7], v[2:3], v[2:3] op_sel:[0,1]
	s_cbranch_vccnz .LBB22_4
; %bb.3:
	v_add_co_u32_e32 v6, vcc, -1, v8
	v_addc_co_u32_e32 v7, vcc, -1, v9, vcc
	v_mul_lo_u32 v10, v7, v8
	v_mul_lo_u32 v11, v6, v9
	v_mad_u64_u32 v[6:7], s[18:19], v6, v8, 0
	v_add3_u32 v7, v7, v11, v10
	v_mad_i64_i32 v[4:5], s[18:19], v8, s17, 0
	v_lshrrev_b64 v[6:7], 1, v[6:7]
	v_sub_co_u32_e32 v4, vcc, v4, v6
	v_subb_co_u32_e32 v5, vcc, v5, v7, vcc
	v_lshlrev_b64 v[4:5], 4, v[4:5]
	v_mov_b32_e32 v6, s16
	v_add_co_u32_e32 v4, vcc, s9, v4
	v_addc_co_u32_e32 v5, vcc, v6, v5, vcc
	global_load_dwordx4 v[10:13], v[4:5], off
	s_waitcnt vmcnt(0)
	v_mul_f64 v[4:5], v[2:3], v[12:13]
	v_mul_f64 v[6:7], v[0:1], v[12:13]
	v_fma_f64 v[4:5], v[0:1], v[10:11], -v[4:5]
	v_fmac_f64_e32 v[6:7], v[2:3], v[10:11]
.LBB22_4:
	v_add_u32_e32 v10, 1, v8
	v_cmp_gt_i32_e32 vcc, s17, v10
	s_and_saveexec_b64 s[18:19], vcc
	s_cbranch_execz .LBB22_8
; %bb.5:
	v_add_co_u32_e32 v11, vcc, -1, v8
	s_ashr_i32 s21, s17, 31
	s_mov_b32 s20, s17
	v_addc_co_u32_e32 v12, vcc, -1, v9, vcc
	v_mul_lo_u32 v14, v12, v8
	v_mad_u64_u32 v[12:13], s[22:23], v11, v8, 0
	s_lshl_b64 s[20:21], s[20:21], 4
	v_mul_lo_u32 v15, v11, v9
	s_add_u32 s22, s20, -16
	v_add3_u32 v13, v13, v15, v14
	s_addc_u32 s23, s21, -1
	v_pk_mov_b32 v[14:15], s[14:15], s[14:15] op_sel:[0,1]
	v_mad_u64_u32 v[14:15], s[20:21], s22, v8, v[14:15]
	v_mul_lo_u32 v11, s22, v9
	v_mul_lo_u32 v16, s23, v8
	v_add3_u32 v15, v16, v15, v11
	v_ashrrev_i32_e32 v11, 31, v10
	v_lshlrev_b64 v[16:17], 4, v[10:11]
	v_add_co_u32_e32 v14, vcc, v14, v16
	v_lshlrev_b64 v[12:13], 3, v[12:13]
	v_addc_co_u32_e32 v15, vcc, v15, v17, vcc
	v_and_b32_e32 v12, -16, v12
	v_sub_co_u32_e32 v12, vcc, v14, v12
	v_subb_co_u32_e32 v13, vcc, v15, v13, vcc
	v_mov_b32_e32 v14, s11
	v_add_co_u32_e32 v12, vcc, s10, v12
	v_addc_co_u32_e32 v13, vcc, v14, v13, vcc
	v_mul_lo_u32 v16, s7, v10
	v_mul_lo_u32 v11, s6, v11
	v_mad_u64_u32 v[14:15], s[20:21], s6, v10, 0
	v_add_co_u32_e32 v12, vcc, 8, v12
	v_add3_u32 v15, v15, v11, v16
	s_add_u32 s20, s2, s12
	v_addc_co_u32_e32 v13, vcc, 0, v13, vcc
	v_lshlrev_b64 v[14:15], 4, v[14:15]
	s_addc_u32 s21, s3, s13
	v_mov_b32_e32 v11, s21
	v_add_co_u32_e32 v14, vcc, s20, v14
	v_addc_co_u32_e32 v11, vcc, v11, v15, vcc
	v_add_co_u32_e32 v14, vcc, 8, v14
	s_lshl_b64 s[22:23], s[6:7], 4
	v_addc_co_u32_e32 v15, vcc, 0, v11, vcc
	s_mov_b64 s[20:21], 0
	v_mov_b32_e32 v11, s23
.LBB22_6:                               ; =>This Inner Loop Header: Depth=1
	global_load_dwordx4 v[16:19], v[14:15], off offset:-8
	global_load_dwordx4 v[20:23], v[12:13], off offset:-8
	v_add_co_u32_e32 v12, vcc, 16, v12
	v_addc_co_u32_e32 v13, vcc, 0, v13, vcc
	v_add_co_u32_e32 v14, vcc, s22, v14
	v_add_u32_e32 v10, 1, v10
	v_addc_co_u32_e32 v15, vcc, v15, v11, vcc
	v_cmp_le_i32_e32 vcc, s17, v10
	s_or_b64 s[20:21], vcc, s[20:21]
	s_waitcnt vmcnt(0)
	v_mul_f64 v[24:25], v[18:19], v[22:23]
	v_mul_f64 v[22:23], v[16:17], v[22:23]
	v_fma_f64 v[16:17], v[16:17], v[20:21], -v[24:25]
	v_fmac_f64_e32 v[22:23], v[18:19], v[20:21]
	v_add_f64 v[4:5], v[4:5], v[16:17]
	v_add_f64 v[6:7], v[6:7], v[22:23]
	s_andn2_b64 exec, exec, s[20:21]
	s_cbranch_execnz .LBB22_6
; %bb.7:
	s_or_b64 exec, exec, s[20:21]
.LBB22_8:
	s_or_b64 exec, exec, s[18:19]
	s_branch .LBB22_17
.LBB22_9:
                                        ; implicit-def: $vgpr6_vgpr7
	s_and_b64 vcc, exec, s[18:19]
	s_cbranch_vccz .LBB22_17
; %bb.10:
	s_and_b64 vcc, exec, s[0:1]
	v_add_u32_e32 v4, 1, v8
	s_cbranch_vccnz .LBB22_12
; %bb.11:
	v_mad_i64_i32 v[6:7], s[0:1], v4, v8, 0
	v_lshlrev_b64 v[6:7], 3, v[6:7]
	v_and_b32_e32 v5, -16, v6
	v_mov_b32_e32 v6, s16
	v_add_co_u32_e32 v5, vcc, s9, v5
	v_addc_co_u32_e32 v10, vcc, v6, v7, vcc
	v_lshlrev_b64 v[6:7], 4, v[8:9]
	v_add_co_u32_e32 v6, vcc, v5, v6
	v_addc_co_u32_e32 v7, vcc, v10, v7, vcc
	global_load_dwordx4 v[10:13], v[6:7], off
	s_waitcnt vmcnt(0)
	v_mul_f64 v[6:7], v[2:3], v[12:13]
	v_mul_f64 v[12:13], v[0:1], v[12:13]
	v_fmac_f64_e32 v[12:13], v[2:3], v[10:11]
	v_fma_f64 v[0:1], v[0:1], v[10:11], -v[6:7]
	v_pk_mov_b32 v[2:3], v[12:13], v[12:13] op_sel:[0,1]
.LBB22_12:
	v_cmp_lt_i32_e32 vcc, 0, v8
	s_and_saveexec_b64 s[0:1], vcc
	s_cbranch_execz .LBB22_16
; %bb.13:
	v_mad_u64_u32 v[6:7], s[16:17], v4, v8, 0
	v_mov_b32_e32 v10, v7
	v_mad_u64_u32 v[4:5], s[16:17], v4, v9, v[10:11]
	v_mov_b32_e32 v7, v4
	v_lshlrev_b64 v[4:5], 3, v[6:7]
	s_add_u32 s9, s10, s14
	v_and_b32_e32 v4, -16, v4
	s_addc_u32 s10, s11, s15
	v_mov_b32_e32 v6, s10
	v_add_co_u32_e32 v4, vcc, s9, v4
	s_add_u32 s2, s2, s12
	v_addc_co_u32_e32 v5, vcc, v6, v5, vcc
	s_addc_u32 s3, s3, s13
	v_add_co_u32_e32 v4, vcc, 8, v4
	s_add_u32 s9, s2, 8
	v_addc_co_u32_e32 v5, vcc, 0, v5, vcc
	s_addc_u32 s10, s3, 0
	s_lshl_b64 s[6:7], s[6:7], 4
	s_mov_b64 s[2:3], 0
	v_mov_b32_e32 v6, v8
.LBB22_14:                              ; =>This Inner Loop Header: Depth=1
	global_load_dwordx4 v[10:13], v[4:5], off offset:-8
	s_add_u32 s12, s9, -8
	s_addc_u32 s13, s10, -1
	s_load_dwordx4 s[12:15], s[12:13], 0x0
	v_add_co_u32_e32 v4, vcc, 16, v4
	v_add_u32_e32 v6, -1, v6
	v_addc_co_u32_e32 v5, vcc, 0, v5, vcc
	s_add_u32 s9, s9, s6
	v_cmp_eq_u32_e32 vcc, 0, v6
	s_addc_u32 s10, s10, s7
	s_or_b64 s[2:3], vcc, s[2:3]
	s_waitcnt vmcnt(0) lgkmcnt(0)
	v_mul_f64 v[14:15], s[14:15], v[12:13]
	v_mul_f64 v[12:13], s[12:13], v[12:13]
	v_fma_f64 v[14:15], s[12:13], v[10:11], -v[14:15]
	v_fmac_f64_e32 v[12:13], s[14:15], v[10:11]
	v_add_f64 v[0:1], v[0:1], v[14:15]
	v_add_f64 v[2:3], v[2:3], v[12:13]
	s_andn2_b64 exec, exec, s[2:3]
	s_cbranch_execnz .LBB22_14
; %bb.15:
	s_or_b64 exec, exec, s[2:3]
.LBB22_16:
	s_or_b64 exec, exec, s[0:1]
	s_waitcnt vmcnt(0)
	v_pk_mov_b32 v[6:7], v[2:3], v[2:3] op_sel:[0,1]
	v_pk_mov_b32 v[4:5], v[0:1], v[0:1] op_sel:[0,1]
.LBB22_17:
	s_load_dwordx4 s[0:3], s[4:5], 0x40
	s_waitcnt vmcnt(0)
	v_lshlrev_b64 v[0:1], 4, v[8:9]
	s_waitcnt lgkmcnt(0)
	s_mul_i32 s3, s8, s3
	s_mul_hi_u32 s4, s8, s2
	s_mul_i32 s2, s8, s2
	s_add_i32 s3, s4, s3
	s_lshl_b64 s[2:3], s[2:3], 4
	s_add_u32 s0, s0, s2
	s_addc_u32 s1, s1, s3
	v_mov_b32_e32 v2, s1
	v_add_co_u32_e32 v0, vcc, s0, v0
	v_addc_co_u32_e32 v1, vcc, v2, v1, vcc
	global_store_dwordx4 v[0:1], v[4:7], off
.LBB22_18:
	s_endpgm
	.section	.rodata,"a",@progbits
	.p2align	6, 0x0
	.amdhsa_kernel _ZL20rocblas_tpmvt_kernelILi512EPKPK19rocblas_complex_numIdEPKPS1_S6_EvbbiT0_llT1_lllT2_li
		.amdhsa_group_segment_fixed_size 0
		.amdhsa_private_segment_fixed_size 0
		.amdhsa_kernarg_size 344
		.amdhsa_user_sgpr_count 6
		.amdhsa_user_sgpr_private_segment_buffer 1
		.amdhsa_user_sgpr_dispatch_ptr 0
		.amdhsa_user_sgpr_queue_ptr 0
		.amdhsa_user_sgpr_kernarg_segment_ptr 1
		.amdhsa_user_sgpr_dispatch_id 0
		.amdhsa_user_sgpr_flat_scratch_init 0
		.amdhsa_user_sgpr_kernarg_preload_length 0
		.amdhsa_user_sgpr_kernarg_preload_offset 0
		.amdhsa_user_sgpr_private_segment_size 0
		.amdhsa_uses_dynamic_stack 0
		.amdhsa_system_sgpr_private_segment_wavefront_offset 0
		.amdhsa_system_sgpr_workgroup_id_x 1
		.amdhsa_system_sgpr_workgroup_id_y 0
		.amdhsa_system_sgpr_workgroup_id_z 1
		.amdhsa_system_sgpr_workgroup_info 0
		.amdhsa_system_vgpr_workitem_id 0
		.amdhsa_next_free_vgpr 26
		.amdhsa_next_free_sgpr 27
		.amdhsa_accum_offset 28
		.amdhsa_reserve_vcc 1
		.amdhsa_reserve_flat_scratch 0
		.amdhsa_float_round_mode_32 0
		.amdhsa_float_round_mode_16_64 0
		.amdhsa_float_denorm_mode_32 3
		.amdhsa_float_denorm_mode_16_64 3
		.amdhsa_dx10_clamp 1
		.amdhsa_ieee_mode 1
		.amdhsa_fp16_overflow 0
		.amdhsa_tg_split 0
		.amdhsa_exception_fp_ieee_invalid_op 0
		.amdhsa_exception_fp_denorm_src 0
		.amdhsa_exception_fp_ieee_div_zero 0
		.amdhsa_exception_fp_ieee_overflow 0
		.amdhsa_exception_fp_ieee_underflow 0
		.amdhsa_exception_fp_ieee_inexact 0
		.amdhsa_exception_int_div_zero 0
	.end_amdhsa_kernel
	.section	.text._ZL20rocblas_tpmvt_kernelILi512EPKPK19rocblas_complex_numIdEPKPS1_S6_EvbbiT0_llT1_lllT2_li,"axG",@progbits,_ZL20rocblas_tpmvt_kernelILi512EPKPK19rocblas_complex_numIdEPKPS1_S6_EvbbiT0_llT1_lllT2_li,comdat
.Lfunc_end22:
	.size	_ZL20rocblas_tpmvt_kernelILi512EPKPK19rocblas_complex_numIdEPKPS1_S6_EvbbiT0_llT1_lllT2_li, .Lfunc_end22-_ZL20rocblas_tpmvt_kernelILi512EPKPK19rocblas_complex_numIdEPKPS1_S6_EvbbiT0_llT1_lllT2_li
                                        ; -- End function
	.section	.AMDGPU.csdata,"",@progbits
; Kernel info:
; codeLenInByte = 1220
; NumSgprs: 31
; NumVgprs: 26
; NumAgprs: 0
; TotalNumVgprs: 26
; ScratchSize: 0
; MemoryBound: 0
; FloatMode: 240
; IeeeMode: 1
; LDSByteSize: 0 bytes/workgroup (compile time only)
; SGPRBlocks: 3
; VGPRBlocks: 3
; NumSGPRsForWavesPerEU: 31
; NumVGPRsForWavesPerEU: 26
; AccumOffset: 28
; Occupancy: 8
; WaveLimiterHint : 1
; COMPUTE_PGM_RSRC2:SCRATCH_EN: 0
; COMPUTE_PGM_RSRC2:USER_SGPR: 6
; COMPUTE_PGM_RSRC2:TRAP_HANDLER: 0
; COMPUTE_PGM_RSRC2:TGID_X_EN: 1
; COMPUTE_PGM_RSRC2:TGID_Y_EN: 0
; COMPUTE_PGM_RSRC2:TGID_Z_EN: 1
; COMPUTE_PGM_RSRC2:TIDIG_COMP_CNT: 0
; COMPUTE_PGM_RSRC3_GFX90A:ACCUM_OFFSET: 6
; COMPUTE_PGM_RSRC3_GFX90A:TG_SPLIT: 0
	.section	.text._ZL20rocblas_tpmvc_kernelILi512EPKPK19rocblas_complex_numIdEPKPS1_S6_EvbbiT0_llT1_lllT2_li,"axG",@progbits,_ZL20rocblas_tpmvc_kernelILi512EPKPK19rocblas_complex_numIdEPKPS1_S6_EvbbiT0_llT1_lllT2_li,comdat
	.globl	_ZL20rocblas_tpmvc_kernelILi512EPKPK19rocblas_complex_numIdEPKPS1_S6_EvbbiT0_llT1_lllT2_li ; -- Begin function _ZL20rocblas_tpmvc_kernelILi512EPKPK19rocblas_complex_numIdEPKPS1_S6_EvbbiT0_llT1_lllT2_li
	.p2align	8
	.type	_ZL20rocblas_tpmvc_kernelILi512EPKPK19rocblas_complex_numIdEPKPS1_S6_EvbbiT0_llT1_lllT2_li,@function
_ZL20rocblas_tpmvc_kernelILi512EPKPK19rocblas_complex_numIdEPKPS1_S6_EvbbiT0_llT1_lllT2_li: ; @_ZL20rocblas_tpmvc_kernelILi512EPKPK19rocblas_complex_numIdEPKPS1_S6_EvbbiT0_llT1_lllT2_li
; %bb.0:
	s_load_dword s0, s[4:5], 0x64
	s_load_dwordx2 s[16:17], s[4:5], 0x0
	s_waitcnt lgkmcnt(0)
	s_and_b32 s0, s0, 0xffff
	s_mul_i32 s6, s6, s0
	v_add_u32_e32 v8, s6, v0
	v_cmp_gt_i32_e32 vcc, s17, v8
	s_and_saveexec_b64 s[0:1], vcc
	s_cbranch_execz .LBB23_18
; %bb.1:
	s_mov_b32 s8, s7
	s_load_dword s10, s[4:5], 0x0
	s_load_dwordx4 s[0:3], s[4:5], 0x8
	s_load_dwordx2 s[6:7], s[4:5], 0x30
	s_mov_b32 s9, 0
	v_ashrrev_i32_e32 v9, 31, v8
	s_waitcnt lgkmcnt(0)
	s_and_b32 s26, s10, 1
	s_bitcmp1_b32 s16, 8
	s_cselect_b64 s[10:11], -1, 0
	s_lshl_b64 s[12:13], s[8:9], 3
	s_xor_b64 s[24:25], s[10:11], -1
	s_add_u32 s0, s0, s12
	s_addc_u32 s1, s1, s13
	s_load_dwordx2 s[10:11], s[0:1], 0x0
	s_load_dwordx4 s[20:23], s[4:5], 0x20
	s_lshl_b64 s[14:15], s[2:3], 4
	v_mul_lo_u32 v2, v8, s7
	v_mul_lo_u32 v3, v9, s6
	s_waitcnt lgkmcnt(0)
	s_add_u32 s9, s10, s14
	s_addc_u32 s16, s11, s15
	s_add_u32 s0, s20, s12
	s_addc_u32 s1, s21, s13
	s_load_dwordx2 s[2:3], s[0:1], 0x0
	v_mad_u64_u32 v[0:1], s[0:1], v8, s6, 0
	s_lshl_b64 s[12:13], s[22:23], 4
	v_add3_u32 v1, v1, v2, v3
	s_waitcnt lgkmcnt(0)
	s_add_u32 s0, s2, s12
	s_addc_u32 s1, s3, s13
	v_lshlrev_b64 v[0:1], 4, v[0:1]
	v_mov_b32_e32 v2, s1
	v_add_co_u32_e32 v0, vcc, s0, v0
	v_addc_co_u32_e32 v1, vcc, v2, v1, vcc
	global_load_dwordx4 v[0:3], v[0:1], off
	v_cndmask_b32_e64 v4, 0, 1, s[24:25]
	s_mov_b64 s[18:19], -1
	s_cmp_eq_u32 s26, 0
	v_cmp_ne_u32_e64 s[0:1], 1, v4
	s_cbranch_scc0 .LBB23_9
; %bb.2:
	s_and_b64 vcc, exec, s[0:1]
	s_waitcnt vmcnt(0)
	v_pk_mov_b32 v[4:5], v[0:1], v[0:1] op_sel:[0,1]
	v_pk_mov_b32 v[6:7], v[2:3], v[2:3] op_sel:[0,1]
	s_cbranch_vccnz .LBB23_4
; %bb.3:
	v_add_co_u32_e32 v6, vcc, -1, v8
	v_addc_co_u32_e32 v7, vcc, -1, v9, vcc
	v_mul_lo_u32 v10, v7, v8
	v_mul_lo_u32 v11, v6, v9
	v_mad_u64_u32 v[6:7], s[18:19], v6, v8, 0
	v_add3_u32 v7, v7, v11, v10
	v_mad_i64_i32 v[4:5], s[18:19], v8, s17, 0
	v_lshrrev_b64 v[6:7], 1, v[6:7]
	v_sub_co_u32_e32 v4, vcc, v4, v6
	v_subb_co_u32_e32 v5, vcc, v5, v7, vcc
	v_lshlrev_b64 v[4:5], 4, v[4:5]
	v_mov_b32_e32 v6, s16
	v_add_co_u32_e32 v4, vcc, s9, v4
	v_addc_co_u32_e32 v5, vcc, v6, v5, vcc
	global_load_dwordx4 v[10:13], v[4:5], off
	s_waitcnt vmcnt(0)
	v_mul_f64 v[4:5], v[2:3], v[12:13]
	v_mul_f64 v[6:7], v[0:1], v[12:13]
	v_fmac_f64_e32 v[4:5], v[0:1], v[10:11]
	v_fma_f64 v[6:7], v[2:3], v[10:11], -v[6:7]
.LBB23_4:
	v_add_u32_e32 v10, 1, v8
	v_cmp_gt_i32_e32 vcc, s17, v10
	s_and_saveexec_b64 s[18:19], vcc
	s_cbranch_execz .LBB23_8
; %bb.5:
	v_add_co_u32_e32 v11, vcc, -1, v8
	s_ashr_i32 s21, s17, 31
	s_mov_b32 s20, s17
	v_addc_co_u32_e32 v12, vcc, -1, v9, vcc
	v_mul_lo_u32 v14, v12, v8
	v_mad_u64_u32 v[12:13], s[22:23], v11, v8, 0
	s_lshl_b64 s[20:21], s[20:21], 4
	v_mul_lo_u32 v15, v11, v9
	s_add_u32 s22, s20, -16
	v_add3_u32 v13, v13, v15, v14
	s_addc_u32 s23, s21, -1
	v_pk_mov_b32 v[14:15], s[14:15], s[14:15] op_sel:[0,1]
	v_mad_u64_u32 v[14:15], s[20:21], s22, v8, v[14:15]
	v_mul_lo_u32 v11, s22, v9
	v_mul_lo_u32 v16, s23, v8
	v_add3_u32 v15, v16, v15, v11
	v_ashrrev_i32_e32 v11, 31, v10
	v_lshlrev_b64 v[16:17], 4, v[10:11]
	v_add_co_u32_e32 v14, vcc, v14, v16
	v_lshlrev_b64 v[12:13], 3, v[12:13]
	v_addc_co_u32_e32 v15, vcc, v15, v17, vcc
	v_and_b32_e32 v12, -16, v12
	v_sub_co_u32_e32 v12, vcc, v14, v12
	v_subb_co_u32_e32 v13, vcc, v15, v13, vcc
	v_mov_b32_e32 v14, s11
	v_add_co_u32_e32 v12, vcc, s10, v12
	v_addc_co_u32_e32 v13, vcc, v14, v13, vcc
	v_mul_lo_u32 v16, s7, v10
	v_mul_lo_u32 v11, s6, v11
	v_mad_u64_u32 v[14:15], s[20:21], s6, v10, 0
	v_add_co_u32_e32 v12, vcc, 8, v12
	v_add3_u32 v15, v15, v11, v16
	s_add_u32 s20, s2, s12
	v_addc_co_u32_e32 v13, vcc, 0, v13, vcc
	v_lshlrev_b64 v[14:15], 4, v[14:15]
	s_addc_u32 s21, s3, s13
	v_mov_b32_e32 v11, s21
	v_add_co_u32_e32 v14, vcc, s20, v14
	v_addc_co_u32_e32 v11, vcc, v11, v15, vcc
	v_add_co_u32_e32 v14, vcc, 8, v14
	s_lshl_b64 s[22:23], s[6:7], 4
	v_addc_co_u32_e32 v15, vcc, 0, v11, vcc
	s_mov_b64 s[20:21], 0
	v_mov_b32_e32 v11, s23
.LBB23_6:                               ; =>This Inner Loop Header: Depth=1
	global_load_dwordx4 v[16:19], v[12:13], off offset:-8
	global_load_dwordx4 v[20:23], v[14:15], off offset:-8
	v_add_co_u32_e32 v12, vcc, 16, v12
	v_addc_co_u32_e32 v13, vcc, 0, v13, vcc
	v_add_co_u32_e32 v14, vcc, s22, v14
	v_add_u32_e32 v10, 1, v10
	v_addc_co_u32_e32 v15, vcc, v15, v11, vcc
	v_cmp_le_i32_e32 vcc, s17, v10
	s_or_b64 s[20:21], vcc, s[20:21]
	s_waitcnt vmcnt(0)
	v_mul_f64 v[24:25], v[18:19], v[22:23]
	v_mul_f64 v[18:19], v[18:19], v[20:21]
	v_fmac_f64_e32 v[24:25], v[16:17], v[20:21]
	v_fma_f64 v[16:17], v[16:17], v[22:23], -v[18:19]
	v_add_f64 v[4:5], v[4:5], v[24:25]
	v_add_f64 v[6:7], v[6:7], v[16:17]
	s_andn2_b64 exec, exec, s[20:21]
	s_cbranch_execnz .LBB23_6
; %bb.7:
	s_or_b64 exec, exec, s[20:21]
.LBB23_8:
	s_or_b64 exec, exec, s[18:19]
	s_branch .LBB23_17
.LBB23_9:
                                        ; implicit-def: $vgpr6_vgpr7
	s_and_b64 vcc, exec, s[18:19]
	s_cbranch_vccz .LBB23_17
; %bb.10:
	s_and_b64 vcc, exec, s[0:1]
	v_add_u32_e32 v4, 1, v8
	s_cbranch_vccnz .LBB23_12
; %bb.11:
	v_mad_i64_i32 v[6:7], s[0:1], v4, v8, 0
	v_lshlrev_b64 v[6:7], 3, v[6:7]
	v_and_b32_e32 v5, -16, v6
	v_mov_b32_e32 v6, s16
	v_add_co_u32_e32 v5, vcc, s9, v5
	v_addc_co_u32_e32 v10, vcc, v6, v7, vcc
	v_lshlrev_b64 v[6:7], 4, v[8:9]
	v_add_co_u32_e32 v6, vcc, v5, v6
	v_addc_co_u32_e32 v7, vcc, v10, v7, vcc
	global_load_dwordx4 v[10:13], v[6:7], off
	s_waitcnt vmcnt(0)
	v_mul_f64 v[6:7], v[2:3], v[12:13]
	v_mul_f64 v[12:13], v[0:1], v[12:13]
	v_fmac_f64_e32 v[6:7], v[0:1], v[10:11]
	v_fma_f64 v[2:3], v[2:3], v[10:11], -v[12:13]
	v_pk_mov_b32 v[0:1], v[6:7], v[6:7] op_sel:[0,1]
.LBB23_12:
	v_cmp_lt_i32_e32 vcc, 0, v8
	s_and_saveexec_b64 s[0:1], vcc
	s_cbranch_execz .LBB23_16
; %bb.13:
	v_mad_u64_u32 v[6:7], s[16:17], v4, v8, 0
	v_mov_b32_e32 v10, v7
	v_mad_u64_u32 v[4:5], s[16:17], v4, v9, v[10:11]
	v_mov_b32_e32 v7, v4
	v_lshlrev_b64 v[4:5], 3, v[6:7]
	s_add_u32 s9, s10, s14
	v_and_b32_e32 v4, -16, v4
	s_addc_u32 s10, s11, s15
	v_mov_b32_e32 v6, s10
	v_add_co_u32_e32 v4, vcc, s9, v4
	s_add_u32 s2, s2, s12
	v_addc_co_u32_e32 v5, vcc, v6, v5, vcc
	s_addc_u32 s3, s3, s13
	v_add_co_u32_e32 v4, vcc, 8, v4
	s_add_u32 s9, s2, 8
	v_addc_co_u32_e32 v5, vcc, 0, v5, vcc
	s_addc_u32 s10, s3, 0
	s_lshl_b64 s[6:7], s[6:7], 4
	s_mov_b64 s[2:3], 0
	v_mov_b32_e32 v6, v8
.LBB23_14:                              ; =>This Inner Loop Header: Depth=1
	global_load_dwordx4 v[10:13], v[4:5], off offset:-8
	s_add_u32 s12, s9, -8
	s_addc_u32 s13, s10, -1
	s_load_dwordx4 s[12:15], s[12:13], 0x0
	v_add_co_u32_e32 v4, vcc, 16, v4
	v_add_u32_e32 v6, -1, v6
	v_addc_co_u32_e32 v5, vcc, 0, v5, vcc
	s_add_u32 s9, s9, s6
	v_cmp_eq_u32_e32 vcc, 0, v6
	s_addc_u32 s10, s10, s7
	s_or_b64 s[2:3], vcc, s[2:3]
	s_waitcnt vmcnt(0) lgkmcnt(0)
	v_mul_f64 v[14:15], v[12:13], s[14:15]
	v_mul_f64 v[12:13], v[12:13], s[12:13]
	v_fmac_f64_e32 v[14:15], s[12:13], v[10:11]
	v_fma_f64 v[10:11], v[10:11], s[14:15], -v[12:13]
	v_add_f64 v[0:1], v[0:1], v[14:15]
	v_add_f64 v[2:3], v[2:3], v[10:11]
	s_andn2_b64 exec, exec, s[2:3]
	s_cbranch_execnz .LBB23_14
; %bb.15:
	s_or_b64 exec, exec, s[2:3]
.LBB23_16:
	s_or_b64 exec, exec, s[0:1]
	s_waitcnt vmcnt(0)
	v_pk_mov_b32 v[6:7], v[2:3], v[2:3] op_sel:[0,1]
	v_pk_mov_b32 v[4:5], v[0:1], v[0:1] op_sel:[0,1]
.LBB23_17:
	s_load_dwordx4 s[0:3], s[4:5], 0x40
	s_waitcnt vmcnt(0)
	v_lshlrev_b64 v[0:1], 4, v[8:9]
	s_waitcnt lgkmcnt(0)
	s_mul_i32 s3, s8, s3
	s_mul_hi_u32 s4, s8, s2
	s_mul_i32 s2, s8, s2
	s_add_i32 s3, s4, s3
	s_lshl_b64 s[2:3], s[2:3], 4
	s_add_u32 s0, s0, s2
	s_addc_u32 s1, s1, s3
	v_mov_b32_e32 v2, s1
	v_add_co_u32_e32 v0, vcc, s0, v0
	v_addc_co_u32_e32 v1, vcc, v2, v1, vcc
	global_store_dwordx4 v[0:1], v[4:7], off
.LBB23_18:
	s_endpgm
	.section	.rodata,"a",@progbits
	.p2align	6, 0x0
	.amdhsa_kernel _ZL20rocblas_tpmvc_kernelILi512EPKPK19rocblas_complex_numIdEPKPS1_S6_EvbbiT0_llT1_lllT2_li
		.amdhsa_group_segment_fixed_size 0
		.amdhsa_private_segment_fixed_size 0
		.amdhsa_kernarg_size 344
		.amdhsa_user_sgpr_count 6
		.amdhsa_user_sgpr_private_segment_buffer 1
		.amdhsa_user_sgpr_dispatch_ptr 0
		.amdhsa_user_sgpr_queue_ptr 0
		.amdhsa_user_sgpr_kernarg_segment_ptr 1
		.amdhsa_user_sgpr_dispatch_id 0
		.amdhsa_user_sgpr_flat_scratch_init 0
		.amdhsa_user_sgpr_kernarg_preload_length 0
		.amdhsa_user_sgpr_kernarg_preload_offset 0
		.amdhsa_user_sgpr_private_segment_size 0
		.amdhsa_uses_dynamic_stack 0
		.amdhsa_system_sgpr_private_segment_wavefront_offset 0
		.amdhsa_system_sgpr_workgroup_id_x 1
		.amdhsa_system_sgpr_workgroup_id_y 0
		.amdhsa_system_sgpr_workgroup_id_z 1
		.amdhsa_system_sgpr_workgroup_info 0
		.amdhsa_system_vgpr_workitem_id 0
		.amdhsa_next_free_vgpr 26
		.amdhsa_next_free_sgpr 27
		.amdhsa_accum_offset 28
		.amdhsa_reserve_vcc 1
		.amdhsa_reserve_flat_scratch 0
		.amdhsa_float_round_mode_32 0
		.amdhsa_float_round_mode_16_64 0
		.amdhsa_float_denorm_mode_32 3
		.amdhsa_float_denorm_mode_16_64 3
		.amdhsa_dx10_clamp 1
		.amdhsa_ieee_mode 1
		.amdhsa_fp16_overflow 0
		.amdhsa_tg_split 0
		.amdhsa_exception_fp_ieee_invalid_op 0
		.amdhsa_exception_fp_denorm_src 0
		.amdhsa_exception_fp_ieee_div_zero 0
		.amdhsa_exception_fp_ieee_overflow 0
		.amdhsa_exception_fp_ieee_underflow 0
		.amdhsa_exception_fp_ieee_inexact 0
		.amdhsa_exception_int_div_zero 0
	.end_amdhsa_kernel
	.section	.text._ZL20rocblas_tpmvc_kernelILi512EPKPK19rocblas_complex_numIdEPKPS1_S6_EvbbiT0_llT1_lllT2_li,"axG",@progbits,_ZL20rocblas_tpmvc_kernelILi512EPKPK19rocblas_complex_numIdEPKPS1_S6_EvbbiT0_llT1_lllT2_li,comdat
.Lfunc_end23:
	.size	_ZL20rocblas_tpmvc_kernelILi512EPKPK19rocblas_complex_numIdEPKPS1_S6_EvbbiT0_llT1_lllT2_li, .Lfunc_end23-_ZL20rocblas_tpmvc_kernelILi512EPKPK19rocblas_complex_numIdEPKPS1_S6_EvbbiT0_llT1_lllT2_li
                                        ; -- End function
	.section	.AMDGPU.csdata,"",@progbits
; Kernel info:
; codeLenInByte = 1220
; NumSgprs: 31
; NumVgprs: 26
; NumAgprs: 0
; TotalNumVgprs: 26
; ScratchSize: 0
; MemoryBound: 0
; FloatMode: 240
; IeeeMode: 1
; LDSByteSize: 0 bytes/workgroup (compile time only)
; SGPRBlocks: 3
; VGPRBlocks: 3
; NumSGPRsForWavesPerEU: 31
; NumVGPRsForWavesPerEU: 26
; AccumOffset: 28
; Occupancy: 8
; WaveLimiterHint : 1
; COMPUTE_PGM_RSRC2:SCRATCH_EN: 0
; COMPUTE_PGM_RSRC2:USER_SGPR: 6
; COMPUTE_PGM_RSRC2:TRAP_HANDLER: 0
; COMPUTE_PGM_RSRC2:TGID_X_EN: 1
; COMPUTE_PGM_RSRC2:TGID_Y_EN: 0
; COMPUTE_PGM_RSRC2:TGID_Z_EN: 1
; COMPUTE_PGM_RSRC2:TIDIG_COMP_CNT: 0
; COMPUTE_PGM_RSRC3_GFX90A:ACCUM_OFFSET: 6
; COMPUTE_PGM_RSRC3_GFX90A:TG_SPLIT: 0
	.text
	.p2alignl 6, 3212836864
	.fill 256, 4, 3212836864
	.type	__hip_cuid_920b56bb3819164d,@object ; @__hip_cuid_920b56bb3819164d
	.section	.bss,"aw",@nobits
	.globl	__hip_cuid_920b56bb3819164d
__hip_cuid_920b56bb3819164d:
	.byte	0                               ; 0x0
	.size	__hip_cuid_920b56bb3819164d, 1

	.ident	"AMD clang version 19.0.0git (https://github.com/RadeonOpenCompute/llvm-project roc-6.4.0 25133 c7fe45cf4b819c5991fe208aaa96edf142730f1d)"
	.section	".note.GNU-stack","",@progbits
	.addrsig
	.addrsig_sym __hip_cuid_920b56bb3819164d
	.amdgpu_metadata
---
amdhsa.kernels:
  - .agpr_count:     0
    .args:
      - .offset:         0
        .size:           1
        .value_kind:     by_value
      - .offset:         1
        .size:           1
        .value_kind:     by_value
      - .offset:         4
        .size:           4
        .value_kind:     by_value
      - .address_space:  global
        .offset:         8
        .size:           8
        .value_kind:     global_buffer
      - .offset:         16
        .size:           8
        .value_kind:     by_value
      - .offset:         24
        .size:           8
        .value_kind:     by_value
      - .address_space:  global
        .offset:         32
        .size:           8
        .value_kind:     global_buffer
      - .offset:         40
        .size:           8
        .value_kind:     by_value
      - .offset:         48
        .size:           8
        .value_kind:     by_value
      - .offset:         56
        .size:           8
        .value_kind:     by_value
      - .address_space:  global
        .offset:         64
        .size:           8
        .value_kind:     global_buffer
      - .offset:         72
        .size:           8
        .value_kind:     by_value
      - .offset:         80
        .size:           4
        .value_kind:     by_value
      - .offset:         88
        .size:           4
        .value_kind:     hidden_block_count_x
      - .offset:         92
        .size:           4
        .value_kind:     hidden_block_count_y
      - .offset:         96
        .size:           4
        .value_kind:     hidden_block_count_z
      - .offset:         100
        .size:           2
        .value_kind:     hidden_group_size_x
      - .offset:         102
        .size:           2
        .value_kind:     hidden_group_size_y
      - .offset:         104
        .size:           2
        .value_kind:     hidden_group_size_z
      - .offset:         106
        .size:           2
        .value_kind:     hidden_remainder_x
      - .offset:         108
        .size:           2
        .value_kind:     hidden_remainder_y
      - .offset:         110
        .size:           2
        .value_kind:     hidden_remainder_z
      - .offset:         128
        .size:           8
        .value_kind:     hidden_global_offset_x
      - .offset:         136
        .size:           8
        .value_kind:     hidden_global_offset_y
      - .offset:         144
        .size:           8
        .value_kind:     hidden_global_offset_z
      - .offset:         152
        .size:           2
        .value_kind:     hidden_grid_dims
    .group_segment_fixed_size: 0
    .kernarg_segment_align: 8
    .kernarg_segment_size: 344
    .language:       OpenCL C
    .language_version:
      - 2
      - 0
    .max_flat_workgroup_size: 512
    .name:           _ZL20rocblas_tpmvn_kernelILi512EPKfPfS2_EvbbiT0_llT1_lllT2_li
    .private_segment_fixed_size: 0
    .sgpr_count:     41
    .sgpr_spill_count: 0
    .symbol:         _ZL20rocblas_tpmvn_kernelILi512EPKfPfS2_EvbbiT0_llT1_lllT2_li.kd
    .uniform_work_group_size: 1
    .uses_dynamic_stack: false
    .vgpr_count:     17
    .vgpr_spill_count: 0
    .wavefront_size: 64
  - .agpr_count:     0
    .args:
      - .offset:         0
        .size:           1
        .value_kind:     by_value
      - .offset:         1
        .size:           1
        .value_kind:     by_value
      - .offset:         4
        .size:           4
        .value_kind:     by_value
      - .address_space:  global
        .offset:         8
        .size:           8
        .value_kind:     global_buffer
      - .offset:         16
        .size:           8
        .value_kind:     by_value
      - .offset:         24
        .size:           8
        .value_kind:     by_value
      - .address_space:  global
        .offset:         32
        .size:           8
        .value_kind:     global_buffer
      - .offset:         40
        .size:           8
        .value_kind:     by_value
      - .offset:         48
        .size:           8
        .value_kind:     by_value
      - .offset:         56
        .size:           8
        .value_kind:     by_value
      - .address_space:  global
        .offset:         64
        .size:           8
        .value_kind:     global_buffer
      - .offset:         72
        .size:           8
        .value_kind:     by_value
      - .offset:         80
        .size:           4
        .value_kind:     by_value
      - .offset:         88
        .size:           4
        .value_kind:     hidden_block_count_x
      - .offset:         92
        .size:           4
        .value_kind:     hidden_block_count_y
      - .offset:         96
        .size:           4
        .value_kind:     hidden_block_count_z
      - .offset:         100
        .size:           2
        .value_kind:     hidden_group_size_x
      - .offset:         102
        .size:           2
        .value_kind:     hidden_group_size_y
      - .offset:         104
        .size:           2
        .value_kind:     hidden_group_size_z
      - .offset:         106
        .size:           2
        .value_kind:     hidden_remainder_x
      - .offset:         108
        .size:           2
        .value_kind:     hidden_remainder_y
      - .offset:         110
        .size:           2
        .value_kind:     hidden_remainder_z
      - .offset:         128
        .size:           8
        .value_kind:     hidden_global_offset_x
      - .offset:         136
        .size:           8
        .value_kind:     hidden_global_offset_y
      - .offset:         144
        .size:           8
        .value_kind:     hidden_global_offset_z
      - .offset:         152
        .size:           2
        .value_kind:     hidden_grid_dims
    .group_segment_fixed_size: 0
    .kernarg_segment_align: 8
    .kernarg_segment_size: 344
    .language:       OpenCL C
    .language_version:
      - 2
      - 0
    .max_flat_workgroup_size: 512
    .name:           _ZL20rocblas_tpmvt_kernelILi512EPKfPfS2_EvbbiT0_llT1_lllT2_li
    .private_segment_fixed_size: 0
    .sgpr_count:     36
    .sgpr_spill_count: 0
    .symbol:         _ZL20rocblas_tpmvt_kernelILi512EPKfPfS2_EvbbiT0_llT1_lllT2_li.kd
    .uniform_work_group_size: 1
    .uses_dynamic_stack: false
    .vgpr_count:     14
    .vgpr_spill_count: 0
    .wavefront_size: 64
  - .agpr_count:     0
    .args:
      - .offset:         0
        .size:           1
        .value_kind:     by_value
      - .offset:         1
        .size:           1
        .value_kind:     by_value
      - .offset:         4
        .size:           4
        .value_kind:     by_value
      - .address_space:  global
        .offset:         8
        .size:           8
        .value_kind:     global_buffer
      - .offset:         16
        .size:           8
        .value_kind:     by_value
      - .offset:         24
        .size:           8
        .value_kind:     by_value
      - .address_space:  global
        .offset:         32
        .size:           8
        .value_kind:     global_buffer
      - .offset:         40
        .size:           8
        .value_kind:     by_value
      - .offset:         48
        .size:           8
        .value_kind:     by_value
      - .offset:         56
        .size:           8
        .value_kind:     by_value
      - .address_space:  global
        .offset:         64
        .size:           8
        .value_kind:     global_buffer
      - .offset:         72
        .size:           8
        .value_kind:     by_value
      - .offset:         80
        .size:           4
        .value_kind:     by_value
      - .offset:         88
        .size:           4
        .value_kind:     hidden_block_count_x
      - .offset:         92
        .size:           4
        .value_kind:     hidden_block_count_y
      - .offset:         96
        .size:           4
        .value_kind:     hidden_block_count_z
      - .offset:         100
        .size:           2
        .value_kind:     hidden_group_size_x
      - .offset:         102
        .size:           2
        .value_kind:     hidden_group_size_y
      - .offset:         104
        .size:           2
        .value_kind:     hidden_group_size_z
      - .offset:         106
        .size:           2
        .value_kind:     hidden_remainder_x
      - .offset:         108
        .size:           2
        .value_kind:     hidden_remainder_y
      - .offset:         110
        .size:           2
        .value_kind:     hidden_remainder_z
      - .offset:         128
        .size:           8
        .value_kind:     hidden_global_offset_x
      - .offset:         136
        .size:           8
        .value_kind:     hidden_global_offset_y
      - .offset:         144
        .size:           8
        .value_kind:     hidden_global_offset_z
      - .offset:         152
        .size:           2
        .value_kind:     hidden_grid_dims
    .group_segment_fixed_size: 0
    .kernarg_segment_align: 8
    .kernarg_segment_size: 344
    .language:       OpenCL C
    .language_version:
      - 2
      - 0
    .max_flat_workgroup_size: 512
    .name:           _ZL20rocblas_tpmvc_kernelILi512EPKfPfS2_EvbbiT0_llT1_lllT2_li
    .private_segment_fixed_size: 0
    .sgpr_count:     36
    .sgpr_spill_count: 0
    .symbol:         _ZL20rocblas_tpmvc_kernelILi512EPKfPfS2_EvbbiT0_llT1_lllT2_li.kd
    .uniform_work_group_size: 1
    .uses_dynamic_stack: false
    .vgpr_count:     14
    .vgpr_spill_count: 0
    .wavefront_size: 64
  - .agpr_count:     0
    .args:
      - .offset:         0
        .size:           1
        .value_kind:     by_value
      - .offset:         1
        .size:           1
        .value_kind:     by_value
      - .offset:         4
        .size:           4
        .value_kind:     by_value
      - .address_space:  global
        .offset:         8
        .size:           8
        .value_kind:     global_buffer
      - .offset:         16
        .size:           8
        .value_kind:     by_value
      - .offset:         24
        .size:           8
        .value_kind:     by_value
      - .address_space:  global
        .offset:         32
        .size:           8
        .value_kind:     global_buffer
      - .offset:         40
        .size:           8
        .value_kind:     by_value
      - .offset:         48
        .size:           8
        .value_kind:     by_value
      - .offset:         56
        .size:           8
        .value_kind:     by_value
      - .address_space:  global
        .offset:         64
        .size:           8
        .value_kind:     global_buffer
      - .offset:         72
        .size:           8
        .value_kind:     by_value
      - .offset:         80
        .size:           4
        .value_kind:     by_value
      - .offset:         88
        .size:           4
        .value_kind:     hidden_block_count_x
      - .offset:         92
        .size:           4
        .value_kind:     hidden_block_count_y
      - .offset:         96
        .size:           4
        .value_kind:     hidden_block_count_z
      - .offset:         100
        .size:           2
        .value_kind:     hidden_group_size_x
      - .offset:         102
        .size:           2
        .value_kind:     hidden_group_size_y
      - .offset:         104
        .size:           2
        .value_kind:     hidden_group_size_z
      - .offset:         106
        .size:           2
        .value_kind:     hidden_remainder_x
      - .offset:         108
        .size:           2
        .value_kind:     hidden_remainder_y
      - .offset:         110
        .size:           2
        .value_kind:     hidden_remainder_z
      - .offset:         128
        .size:           8
        .value_kind:     hidden_global_offset_x
      - .offset:         136
        .size:           8
        .value_kind:     hidden_global_offset_y
      - .offset:         144
        .size:           8
        .value_kind:     hidden_global_offset_z
      - .offset:         152
        .size:           2
        .value_kind:     hidden_grid_dims
    .group_segment_fixed_size: 0
    .kernarg_segment_align: 8
    .kernarg_segment_size: 344
    .language:       OpenCL C
    .language_version:
      - 2
      - 0
    .max_flat_workgroup_size: 512
    .name:           _ZL20rocblas_tpmvn_kernelILi512EPKdPdS2_EvbbiT0_llT1_lllT2_li
    .private_segment_fixed_size: 0
    .sgpr_count:     42
    .sgpr_spill_count: 0
    .symbol:         _ZL20rocblas_tpmvn_kernelILi512EPKdPdS2_EvbbiT0_llT1_lllT2_li.kd
    .uniform_work_group_size: 1
    .uses_dynamic_stack: false
    .vgpr_count:     19
    .vgpr_spill_count: 0
    .wavefront_size: 64
  - .agpr_count:     0
    .args:
      - .offset:         0
        .size:           1
        .value_kind:     by_value
      - .offset:         1
        .size:           1
        .value_kind:     by_value
      - .offset:         4
        .size:           4
        .value_kind:     by_value
      - .address_space:  global
        .offset:         8
        .size:           8
        .value_kind:     global_buffer
      - .offset:         16
        .size:           8
        .value_kind:     by_value
      - .offset:         24
        .size:           8
        .value_kind:     by_value
      - .address_space:  global
        .offset:         32
        .size:           8
        .value_kind:     global_buffer
      - .offset:         40
        .size:           8
        .value_kind:     by_value
      - .offset:         48
        .size:           8
        .value_kind:     by_value
      - .offset:         56
        .size:           8
        .value_kind:     by_value
      - .address_space:  global
        .offset:         64
        .size:           8
        .value_kind:     global_buffer
      - .offset:         72
        .size:           8
        .value_kind:     by_value
      - .offset:         80
        .size:           4
        .value_kind:     by_value
      - .offset:         88
        .size:           4
        .value_kind:     hidden_block_count_x
      - .offset:         92
        .size:           4
        .value_kind:     hidden_block_count_y
      - .offset:         96
        .size:           4
        .value_kind:     hidden_block_count_z
      - .offset:         100
        .size:           2
        .value_kind:     hidden_group_size_x
      - .offset:         102
        .size:           2
        .value_kind:     hidden_group_size_y
      - .offset:         104
        .size:           2
        .value_kind:     hidden_group_size_z
      - .offset:         106
        .size:           2
        .value_kind:     hidden_remainder_x
      - .offset:         108
        .size:           2
        .value_kind:     hidden_remainder_y
      - .offset:         110
        .size:           2
        .value_kind:     hidden_remainder_z
      - .offset:         128
        .size:           8
        .value_kind:     hidden_global_offset_x
      - .offset:         136
        .size:           8
        .value_kind:     hidden_global_offset_y
      - .offset:         144
        .size:           8
        .value_kind:     hidden_global_offset_z
      - .offset:         152
        .size:           2
        .value_kind:     hidden_grid_dims
    .group_segment_fixed_size: 0
    .kernarg_segment_align: 8
    .kernarg_segment_size: 344
    .language:       OpenCL C
    .language_version:
      - 2
      - 0
    .max_flat_workgroup_size: 512
    .name:           _ZL20rocblas_tpmvt_kernelILi512EPKdPdS2_EvbbiT0_llT1_lllT2_li
    .private_segment_fixed_size: 0
    .sgpr_count:     36
    .sgpr_spill_count: 0
    .symbol:         _ZL20rocblas_tpmvt_kernelILi512EPKdPdS2_EvbbiT0_llT1_lllT2_li.kd
    .uniform_work_group_size: 1
    .uses_dynamic_stack: false
    .vgpr_count:     16
    .vgpr_spill_count: 0
    .wavefront_size: 64
  - .agpr_count:     0
    .args:
      - .offset:         0
        .size:           1
        .value_kind:     by_value
      - .offset:         1
        .size:           1
        .value_kind:     by_value
      - .offset:         4
        .size:           4
        .value_kind:     by_value
      - .address_space:  global
        .offset:         8
        .size:           8
        .value_kind:     global_buffer
      - .offset:         16
        .size:           8
        .value_kind:     by_value
      - .offset:         24
        .size:           8
        .value_kind:     by_value
      - .address_space:  global
        .offset:         32
        .size:           8
        .value_kind:     global_buffer
      - .offset:         40
        .size:           8
        .value_kind:     by_value
      - .offset:         48
        .size:           8
        .value_kind:     by_value
      - .offset:         56
        .size:           8
        .value_kind:     by_value
      - .address_space:  global
        .offset:         64
        .size:           8
        .value_kind:     global_buffer
      - .offset:         72
        .size:           8
        .value_kind:     by_value
      - .offset:         80
        .size:           4
        .value_kind:     by_value
      - .offset:         88
        .size:           4
        .value_kind:     hidden_block_count_x
      - .offset:         92
        .size:           4
        .value_kind:     hidden_block_count_y
      - .offset:         96
        .size:           4
        .value_kind:     hidden_block_count_z
      - .offset:         100
        .size:           2
        .value_kind:     hidden_group_size_x
      - .offset:         102
        .size:           2
        .value_kind:     hidden_group_size_y
      - .offset:         104
        .size:           2
        .value_kind:     hidden_group_size_z
      - .offset:         106
        .size:           2
        .value_kind:     hidden_remainder_x
      - .offset:         108
        .size:           2
        .value_kind:     hidden_remainder_y
      - .offset:         110
        .size:           2
        .value_kind:     hidden_remainder_z
      - .offset:         128
        .size:           8
        .value_kind:     hidden_global_offset_x
      - .offset:         136
        .size:           8
        .value_kind:     hidden_global_offset_y
      - .offset:         144
        .size:           8
        .value_kind:     hidden_global_offset_z
      - .offset:         152
        .size:           2
        .value_kind:     hidden_grid_dims
    .group_segment_fixed_size: 0
    .kernarg_segment_align: 8
    .kernarg_segment_size: 344
    .language:       OpenCL C
    .language_version:
      - 2
      - 0
    .max_flat_workgroup_size: 512
    .name:           _ZL20rocblas_tpmvc_kernelILi512EPKdPdS2_EvbbiT0_llT1_lllT2_li
    .private_segment_fixed_size: 0
    .sgpr_count:     36
    .sgpr_spill_count: 0
    .symbol:         _ZL20rocblas_tpmvc_kernelILi512EPKdPdS2_EvbbiT0_llT1_lllT2_li.kd
    .uniform_work_group_size: 1
    .uses_dynamic_stack: false
    .vgpr_count:     16
    .vgpr_spill_count: 0
    .wavefront_size: 64
  - .agpr_count:     0
    .args:
      - .offset:         0
        .size:           1
        .value_kind:     by_value
      - .offset:         1
        .size:           1
        .value_kind:     by_value
      - .offset:         4
        .size:           4
        .value_kind:     by_value
      - .address_space:  global
        .offset:         8
        .size:           8
        .value_kind:     global_buffer
      - .offset:         16
        .size:           8
        .value_kind:     by_value
      - .offset:         24
        .size:           8
        .value_kind:     by_value
      - .address_space:  global
        .offset:         32
        .size:           8
        .value_kind:     global_buffer
      - .offset:         40
        .size:           8
        .value_kind:     by_value
      - .offset:         48
        .size:           8
        .value_kind:     by_value
      - .offset:         56
        .size:           8
        .value_kind:     by_value
      - .address_space:  global
        .offset:         64
        .size:           8
        .value_kind:     global_buffer
      - .offset:         72
        .size:           8
        .value_kind:     by_value
      - .offset:         80
        .size:           4
        .value_kind:     by_value
      - .offset:         88
        .size:           4
        .value_kind:     hidden_block_count_x
      - .offset:         92
        .size:           4
        .value_kind:     hidden_block_count_y
      - .offset:         96
        .size:           4
        .value_kind:     hidden_block_count_z
      - .offset:         100
        .size:           2
        .value_kind:     hidden_group_size_x
      - .offset:         102
        .size:           2
        .value_kind:     hidden_group_size_y
      - .offset:         104
        .size:           2
        .value_kind:     hidden_group_size_z
      - .offset:         106
        .size:           2
        .value_kind:     hidden_remainder_x
      - .offset:         108
        .size:           2
        .value_kind:     hidden_remainder_y
      - .offset:         110
        .size:           2
        .value_kind:     hidden_remainder_z
      - .offset:         128
        .size:           8
        .value_kind:     hidden_global_offset_x
      - .offset:         136
        .size:           8
        .value_kind:     hidden_global_offset_y
      - .offset:         144
        .size:           8
        .value_kind:     hidden_global_offset_z
      - .offset:         152
        .size:           2
        .value_kind:     hidden_grid_dims
    .group_segment_fixed_size: 0
    .kernarg_segment_align: 8
    .kernarg_segment_size: 344
    .language:       OpenCL C
    .language_version:
      - 2
      - 0
    .max_flat_workgroup_size: 512
    .name:           _ZL20rocblas_tpmvn_kernelILi512EPK19rocblas_complex_numIfEPS1_S4_EvbbiT0_llT1_lllT2_li
    .private_segment_fixed_size: 0
    .sgpr_count:     42
    .sgpr_spill_count: 0
    .symbol:         _ZL20rocblas_tpmvn_kernelILi512EPK19rocblas_complex_numIfEPS1_S4_EvbbiT0_llT1_lllT2_li.kd
    .uniform_work_group_size: 1
    .uses_dynamic_stack: false
    .vgpr_count:     19
    .vgpr_spill_count: 0
    .wavefront_size: 64
  - .agpr_count:     0
    .args:
      - .offset:         0
        .size:           1
        .value_kind:     by_value
      - .offset:         1
        .size:           1
        .value_kind:     by_value
      - .offset:         4
        .size:           4
        .value_kind:     by_value
      - .address_space:  global
        .offset:         8
        .size:           8
        .value_kind:     global_buffer
      - .offset:         16
        .size:           8
        .value_kind:     by_value
      - .offset:         24
        .size:           8
        .value_kind:     by_value
      - .address_space:  global
        .offset:         32
        .size:           8
        .value_kind:     global_buffer
      - .offset:         40
        .size:           8
        .value_kind:     by_value
      - .offset:         48
        .size:           8
        .value_kind:     by_value
      - .offset:         56
        .size:           8
        .value_kind:     by_value
      - .address_space:  global
        .offset:         64
        .size:           8
        .value_kind:     global_buffer
      - .offset:         72
        .size:           8
        .value_kind:     by_value
      - .offset:         80
        .size:           4
        .value_kind:     by_value
      - .offset:         88
        .size:           4
        .value_kind:     hidden_block_count_x
      - .offset:         92
        .size:           4
        .value_kind:     hidden_block_count_y
      - .offset:         96
        .size:           4
        .value_kind:     hidden_block_count_z
      - .offset:         100
        .size:           2
        .value_kind:     hidden_group_size_x
      - .offset:         102
        .size:           2
        .value_kind:     hidden_group_size_y
      - .offset:         104
        .size:           2
        .value_kind:     hidden_group_size_z
      - .offset:         106
        .size:           2
        .value_kind:     hidden_remainder_x
      - .offset:         108
        .size:           2
        .value_kind:     hidden_remainder_y
      - .offset:         110
        .size:           2
        .value_kind:     hidden_remainder_z
      - .offset:         128
        .size:           8
        .value_kind:     hidden_global_offset_x
      - .offset:         136
        .size:           8
        .value_kind:     hidden_global_offset_y
      - .offset:         144
        .size:           8
        .value_kind:     hidden_global_offset_z
      - .offset:         152
        .size:           2
        .value_kind:     hidden_grid_dims
    .group_segment_fixed_size: 0
    .kernarg_segment_align: 8
    .kernarg_segment_size: 344
    .language:       OpenCL C
    .language_version:
      - 2
      - 0
    .max_flat_workgroup_size: 512
    .name:           _ZL20rocblas_tpmvt_kernelILi512EPK19rocblas_complex_numIfEPS1_S4_EvbbiT0_llT1_lllT2_li
    .private_segment_fixed_size: 0
    .sgpr_count:     34
    .sgpr_spill_count: 0
    .symbol:         _ZL20rocblas_tpmvt_kernelILi512EPK19rocblas_complex_numIfEPS1_S4_EvbbiT0_llT1_lllT2_li.kd
    .uniform_work_group_size: 1
    .uses_dynamic_stack: false
    .vgpr_count:     17
    .vgpr_spill_count: 0
    .wavefront_size: 64
  - .agpr_count:     0
    .args:
      - .offset:         0
        .size:           1
        .value_kind:     by_value
      - .offset:         1
        .size:           1
        .value_kind:     by_value
      - .offset:         4
        .size:           4
        .value_kind:     by_value
      - .address_space:  global
        .offset:         8
        .size:           8
        .value_kind:     global_buffer
      - .offset:         16
        .size:           8
        .value_kind:     by_value
      - .offset:         24
        .size:           8
        .value_kind:     by_value
      - .address_space:  global
        .offset:         32
        .size:           8
        .value_kind:     global_buffer
      - .offset:         40
        .size:           8
        .value_kind:     by_value
      - .offset:         48
        .size:           8
        .value_kind:     by_value
      - .offset:         56
        .size:           8
        .value_kind:     by_value
      - .address_space:  global
        .offset:         64
        .size:           8
        .value_kind:     global_buffer
      - .offset:         72
        .size:           8
        .value_kind:     by_value
      - .offset:         80
        .size:           4
        .value_kind:     by_value
      - .offset:         88
        .size:           4
        .value_kind:     hidden_block_count_x
      - .offset:         92
        .size:           4
        .value_kind:     hidden_block_count_y
      - .offset:         96
        .size:           4
        .value_kind:     hidden_block_count_z
      - .offset:         100
        .size:           2
        .value_kind:     hidden_group_size_x
      - .offset:         102
        .size:           2
        .value_kind:     hidden_group_size_y
      - .offset:         104
        .size:           2
        .value_kind:     hidden_group_size_z
      - .offset:         106
        .size:           2
        .value_kind:     hidden_remainder_x
      - .offset:         108
        .size:           2
        .value_kind:     hidden_remainder_y
      - .offset:         110
        .size:           2
        .value_kind:     hidden_remainder_z
      - .offset:         128
        .size:           8
        .value_kind:     hidden_global_offset_x
      - .offset:         136
        .size:           8
        .value_kind:     hidden_global_offset_y
      - .offset:         144
        .size:           8
        .value_kind:     hidden_global_offset_z
      - .offset:         152
        .size:           2
        .value_kind:     hidden_grid_dims
    .group_segment_fixed_size: 0
    .kernarg_segment_align: 8
    .kernarg_segment_size: 344
    .language:       OpenCL C
    .language_version:
      - 2
      - 0
    .max_flat_workgroup_size: 512
    .name:           _ZL20rocblas_tpmvc_kernelILi512EPK19rocblas_complex_numIfEPS1_S4_EvbbiT0_llT1_lllT2_li
    .private_segment_fixed_size: 0
    .sgpr_count:     36
    .sgpr_spill_count: 0
    .symbol:         _ZL20rocblas_tpmvc_kernelILi512EPK19rocblas_complex_numIfEPS1_S4_EvbbiT0_llT1_lllT2_li.kd
    .uniform_work_group_size: 1
    .uses_dynamic_stack: false
    .vgpr_count:     18
    .vgpr_spill_count: 0
    .wavefront_size: 64
  - .agpr_count:     0
    .args:
      - .offset:         0
        .size:           1
        .value_kind:     by_value
      - .offset:         1
        .size:           1
        .value_kind:     by_value
      - .offset:         4
        .size:           4
        .value_kind:     by_value
      - .address_space:  global
        .offset:         8
        .size:           8
        .value_kind:     global_buffer
      - .offset:         16
        .size:           8
        .value_kind:     by_value
      - .offset:         24
        .size:           8
        .value_kind:     by_value
      - .address_space:  global
        .offset:         32
        .size:           8
        .value_kind:     global_buffer
      - .offset:         40
        .size:           8
        .value_kind:     by_value
      - .offset:         48
        .size:           8
        .value_kind:     by_value
      - .offset:         56
        .size:           8
        .value_kind:     by_value
      - .address_space:  global
        .offset:         64
        .size:           8
        .value_kind:     global_buffer
      - .offset:         72
        .size:           8
        .value_kind:     by_value
      - .offset:         80
        .size:           4
        .value_kind:     by_value
      - .offset:         88
        .size:           4
        .value_kind:     hidden_block_count_x
      - .offset:         92
        .size:           4
        .value_kind:     hidden_block_count_y
      - .offset:         96
        .size:           4
        .value_kind:     hidden_block_count_z
      - .offset:         100
        .size:           2
        .value_kind:     hidden_group_size_x
      - .offset:         102
        .size:           2
        .value_kind:     hidden_group_size_y
      - .offset:         104
        .size:           2
        .value_kind:     hidden_group_size_z
      - .offset:         106
        .size:           2
        .value_kind:     hidden_remainder_x
      - .offset:         108
        .size:           2
        .value_kind:     hidden_remainder_y
      - .offset:         110
        .size:           2
        .value_kind:     hidden_remainder_z
      - .offset:         128
        .size:           8
        .value_kind:     hidden_global_offset_x
      - .offset:         136
        .size:           8
        .value_kind:     hidden_global_offset_y
      - .offset:         144
        .size:           8
        .value_kind:     hidden_global_offset_z
      - .offset:         152
        .size:           2
        .value_kind:     hidden_grid_dims
    .group_segment_fixed_size: 0
    .kernarg_segment_align: 8
    .kernarg_segment_size: 344
    .language:       OpenCL C
    .language_version:
      - 2
      - 0
    .max_flat_workgroup_size: 512
    .name:           _ZL20rocblas_tpmvn_kernelILi512EPK19rocblas_complex_numIdEPS1_S4_EvbbiT0_llT1_lllT2_li
    .private_segment_fixed_size: 0
    .sgpr_count:     44
    .sgpr_spill_count: 0
    .symbol:         _ZL20rocblas_tpmvn_kernelILi512EPK19rocblas_complex_numIdEPS1_S4_EvbbiT0_llT1_lllT2_li.kd
    .uniform_work_group_size: 1
    .uses_dynamic_stack: false
    .vgpr_count:     26
    .vgpr_spill_count: 0
    .wavefront_size: 64
  - .agpr_count:     0
    .args:
      - .offset:         0
        .size:           1
        .value_kind:     by_value
      - .offset:         1
        .size:           1
        .value_kind:     by_value
      - .offset:         4
        .size:           4
        .value_kind:     by_value
      - .address_space:  global
        .offset:         8
        .size:           8
        .value_kind:     global_buffer
      - .offset:         16
        .size:           8
        .value_kind:     by_value
      - .offset:         24
        .size:           8
        .value_kind:     by_value
      - .address_space:  global
        .offset:         32
        .size:           8
        .value_kind:     global_buffer
      - .offset:         40
        .size:           8
        .value_kind:     by_value
      - .offset:         48
        .size:           8
        .value_kind:     by_value
      - .offset:         56
        .size:           8
        .value_kind:     by_value
      - .address_space:  global
        .offset:         64
        .size:           8
        .value_kind:     global_buffer
      - .offset:         72
        .size:           8
        .value_kind:     by_value
      - .offset:         80
        .size:           4
        .value_kind:     by_value
      - .offset:         88
        .size:           4
        .value_kind:     hidden_block_count_x
      - .offset:         92
        .size:           4
        .value_kind:     hidden_block_count_y
      - .offset:         96
        .size:           4
        .value_kind:     hidden_block_count_z
      - .offset:         100
        .size:           2
        .value_kind:     hidden_group_size_x
      - .offset:         102
        .size:           2
        .value_kind:     hidden_group_size_y
      - .offset:         104
        .size:           2
        .value_kind:     hidden_group_size_z
      - .offset:         106
        .size:           2
        .value_kind:     hidden_remainder_x
      - .offset:         108
        .size:           2
        .value_kind:     hidden_remainder_y
      - .offset:         110
        .size:           2
        .value_kind:     hidden_remainder_z
      - .offset:         128
        .size:           8
        .value_kind:     hidden_global_offset_x
      - .offset:         136
        .size:           8
        .value_kind:     hidden_global_offset_y
      - .offset:         144
        .size:           8
        .value_kind:     hidden_global_offset_z
      - .offset:         152
        .size:           2
        .value_kind:     hidden_grid_dims
    .group_segment_fixed_size: 0
    .kernarg_segment_align: 8
    .kernarg_segment_size: 344
    .language:       OpenCL C
    .language_version:
      - 2
      - 0
    .max_flat_workgroup_size: 512
    .name:           _ZL20rocblas_tpmvt_kernelILi512EPK19rocblas_complex_numIdEPS1_S4_EvbbiT0_llT1_lllT2_li
    .private_segment_fixed_size: 0
    .sgpr_count:     34
    .sgpr_spill_count: 0
    .symbol:         _ZL20rocblas_tpmvt_kernelILi512EPK19rocblas_complex_numIdEPS1_S4_EvbbiT0_llT1_lllT2_li.kd
    .uniform_work_group_size: 1
    .uses_dynamic_stack: false
    .vgpr_count:     26
    .vgpr_spill_count: 0
    .wavefront_size: 64
  - .agpr_count:     0
    .args:
      - .offset:         0
        .size:           1
        .value_kind:     by_value
      - .offset:         1
        .size:           1
        .value_kind:     by_value
      - .offset:         4
        .size:           4
        .value_kind:     by_value
      - .address_space:  global
        .offset:         8
        .size:           8
        .value_kind:     global_buffer
      - .offset:         16
        .size:           8
        .value_kind:     by_value
      - .offset:         24
        .size:           8
        .value_kind:     by_value
      - .address_space:  global
        .offset:         32
        .size:           8
        .value_kind:     global_buffer
      - .offset:         40
        .size:           8
        .value_kind:     by_value
      - .offset:         48
        .size:           8
        .value_kind:     by_value
      - .offset:         56
        .size:           8
        .value_kind:     by_value
      - .address_space:  global
        .offset:         64
        .size:           8
        .value_kind:     global_buffer
      - .offset:         72
        .size:           8
        .value_kind:     by_value
      - .offset:         80
        .size:           4
        .value_kind:     by_value
      - .offset:         88
        .size:           4
        .value_kind:     hidden_block_count_x
      - .offset:         92
        .size:           4
        .value_kind:     hidden_block_count_y
      - .offset:         96
        .size:           4
        .value_kind:     hidden_block_count_z
      - .offset:         100
        .size:           2
        .value_kind:     hidden_group_size_x
      - .offset:         102
        .size:           2
        .value_kind:     hidden_group_size_y
      - .offset:         104
        .size:           2
        .value_kind:     hidden_group_size_z
      - .offset:         106
        .size:           2
        .value_kind:     hidden_remainder_x
      - .offset:         108
        .size:           2
        .value_kind:     hidden_remainder_y
      - .offset:         110
        .size:           2
        .value_kind:     hidden_remainder_z
      - .offset:         128
        .size:           8
        .value_kind:     hidden_global_offset_x
      - .offset:         136
        .size:           8
        .value_kind:     hidden_global_offset_y
      - .offset:         144
        .size:           8
        .value_kind:     hidden_global_offset_z
      - .offset:         152
        .size:           2
        .value_kind:     hidden_grid_dims
    .group_segment_fixed_size: 0
    .kernarg_segment_align: 8
    .kernarg_segment_size: 344
    .language:       OpenCL C
    .language_version:
      - 2
      - 0
    .max_flat_workgroup_size: 512
    .name:           _ZL20rocblas_tpmvc_kernelILi512EPK19rocblas_complex_numIdEPS1_S4_EvbbiT0_llT1_lllT2_li
    .private_segment_fixed_size: 0
    .sgpr_count:     34
    .sgpr_spill_count: 0
    .symbol:         _ZL20rocblas_tpmvc_kernelILi512EPK19rocblas_complex_numIdEPS1_S4_EvbbiT0_llT1_lllT2_li.kd
    .uniform_work_group_size: 1
    .uses_dynamic_stack: false
    .vgpr_count:     26
    .vgpr_spill_count: 0
    .wavefront_size: 64
  - .agpr_count:     0
    .args:
      - .offset:         0
        .size:           1
        .value_kind:     by_value
      - .offset:         1
        .size:           1
        .value_kind:     by_value
      - .offset:         4
        .size:           4
        .value_kind:     by_value
      - .address_space:  global
        .offset:         8
        .size:           8
        .value_kind:     global_buffer
      - .offset:         16
        .size:           8
        .value_kind:     by_value
      - .offset:         24
        .size:           8
        .value_kind:     by_value
      - .address_space:  global
        .offset:         32
        .size:           8
        .value_kind:     global_buffer
      - .offset:         40
        .size:           8
        .value_kind:     by_value
      - .offset:         48
        .size:           8
        .value_kind:     by_value
      - .offset:         56
        .size:           8
        .value_kind:     by_value
      - .address_space:  global
        .offset:         64
        .size:           8
        .value_kind:     global_buffer
      - .offset:         72
        .size:           8
        .value_kind:     by_value
      - .offset:         80
        .size:           4
        .value_kind:     by_value
      - .offset:         88
        .size:           4
        .value_kind:     hidden_block_count_x
      - .offset:         92
        .size:           4
        .value_kind:     hidden_block_count_y
      - .offset:         96
        .size:           4
        .value_kind:     hidden_block_count_z
      - .offset:         100
        .size:           2
        .value_kind:     hidden_group_size_x
      - .offset:         102
        .size:           2
        .value_kind:     hidden_group_size_y
      - .offset:         104
        .size:           2
        .value_kind:     hidden_group_size_z
      - .offset:         106
        .size:           2
        .value_kind:     hidden_remainder_x
      - .offset:         108
        .size:           2
        .value_kind:     hidden_remainder_y
      - .offset:         110
        .size:           2
        .value_kind:     hidden_remainder_z
      - .offset:         128
        .size:           8
        .value_kind:     hidden_global_offset_x
      - .offset:         136
        .size:           8
        .value_kind:     hidden_global_offset_y
      - .offset:         144
        .size:           8
        .value_kind:     hidden_global_offset_z
      - .offset:         152
        .size:           2
        .value_kind:     hidden_grid_dims
    .group_segment_fixed_size: 0
    .kernarg_segment_align: 8
    .kernarg_segment_size: 344
    .language:       OpenCL C
    .language_version:
      - 2
      - 0
    .max_flat_workgroup_size: 512
    .name:           _ZL20rocblas_tpmvn_kernelILi512EPKPKfPKPfS4_EvbbiT0_llT1_lllT2_li
    .private_segment_fixed_size: 0
    .sgpr_count:     36
    .sgpr_spill_count: 0
    .symbol:         _ZL20rocblas_tpmvn_kernelILi512EPKPKfPKPfS4_EvbbiT0_llT1_lllT2_li.kd
    .uniform_work_group_size: 1
    .uses_dynamic_stack: false
    .vgpr_count:     17
    .vgpr_spill_count: 0
    .wavefront_size: 64
  - .agpr_count:     0
    .args:
      - .offset:         0
        .size:           1
        .value_kind:     by_value
      - .offset:         1
        .size:           1
        .value_kind:     by_value
      - .offset:         4
        .size:           4
        .value_kind:     by_value
      - .address_space:  global
        .offset:         8
        .size:           8
        .value_kind:     global_buffer
      - .offset:         16
        .size:           8
        .value_kind:     by_value
      - .offset:         24
        .size:           8
        .value_kind:     by_value
      - .address_space:  global
        .offset:         32
        .size:           8
        .value_kind:     global_buffer
      - .offset:         40
        .size:           8
        .value_kind:     by_value
      - .offset:         48
        .size:           8
        .value_kind:     by_value
      - .offset:         56
        .size:           8
        .value_kind:     by_value
      - .address_space:  global
        .offset:         64
        .size:           8
        .value_kind:     global_buffer
      - .offset:         72
        .size:           8
        .value_kind:     by_value
      - .offset:         80
        .size:           4
        .value_kind:     by_value
      - .offset:         88
        .size:           4
        .value_kind:     hidden_block_count_x
      - .offset:         92
        .size:           4
        .value_kind:     hidden_block_count_y
      - .offset:         96
        .size:           4
        .value_kind:     hidden_block_count_z
      - .offset:         100
        .size:           2
        .value_kind:     hidden_group_size_x
      - .offset:         102
        .size:           2
        .value_kind:     hidden_group_size_y
      - .offset:         104
        .size:           2
        .value_kind:     hidden_group_size_z
      - .offset:         106
        .size:           2
        .value_kind:     hidden_remainder_x
      - .offset:         108
        .size:           2
        .value_kind:     hidden_remainder_y
      - .offset:         110
        .size:           2
        .value_kind:     hidden_remainder_z
      - .offset:         128
        .size:           8
        .value_kind:     hidden_global_offset_x
      - .offset:         136
        .size:           8
        .value_kind:     hidden_global_offset_y
      - .offset:         144
        .size:           8
        .value_kind:     hidden_global_offset_z
      - .offset:         152
        .size:           2
        .value_kind:     hidden_grid_dims
    .group_segment_fixed_size: 0
    .kernarg_segment_align: 8
    .kernarg_segment_size: 344
    .language:       OpenCL C
    .language_version:
      - 2
      - 0
    .max_flat_workgroup_size: 512
    .name:           _ZL20rocblas_tpmvt_kernelILi512EPKPKfPKPfS4_EvbbiT0_llT1_lllT2_li
    .private_segment_fixed_size: 0
    .sgpr_count:     31
    .sgpr_spill_count: 0
    .symbol:         _ZL20rocblas_tpmvt_kernelILi512EPKPKfPKPfS4_EvbbiT0_llT1_lllT2_li.kd
    .uniform_work_group_size: 1
    .uses_dynamic_stack: false
    .vgpr_count:     14
    .vgpr_spill_count: 0
    .wavefront_size: 64
  - .agpr_count:     0
    .args:
      - .offset:         0
        .size:           1
        .value_kind:     by_value
      - .offset:         1
        .size:           1
        .value_kind:     by_value
      - .offset:         4
        .size:           4
        .value_kind:     by_value
      - .address_space:  global
        .offset:         8
        .size:           8
        .value_kind:     global_buffer
      - .offset:         16
        .size:           8
        .value_kind:     by_value
      - .offset:         24
        .size:           8
        .value_kind:     by_value
      - .address_space:  global
        .offset:         32
        .size:           8
        .value_kind:     global_buffer
      - .offset:         40
        .size:           8
        .value_kind:     by_value
      - .offset:         48
        .size:           8
        .value_kind:     by_value
      - .offset:         56
        .size:           8
        .value_kind:     by_value
      - .address_space:  global
        .offset:         64
        .size:           8
        .value_kind:     global_buffer
      - .offset:         72
        .size:           8
        .value_kind:     by_value
      - .offset:         80
        .size:           4
        .value_kind:     by_value
      - .offset:         88
        .size:           4
        .value_kind:     hidden_block_count_x
      - .offset:         92
        .size:           4
        .value_kind:     hidden_block_count_y
      - .offset:         96
        .size:           4
        .value_kind:     hidden_block_count_z
      - .offset:         100
        .size:           2
        .value_kind:     hidden_group_size_x
      - .offset:         102
        .size:           2
        .value_kind:     hidden_group_size_y
      - .offset:         104
        .size:           2
        .value_kind:     hidden_group_size_z
      - .offset:         106
        .size:           2
        .value_kind:     hidden_remainder_x
      - .offset:         108
        .size:           2
        .value_kind:     hidden_remainder_y
      - .offset:         110
        .size:           2
        .value_kind:     hidden_remainder_z
      - .offset:         128
        .size:           8
        .value_kind:     hidden_global_offset_x
      - .offset:         136
        .size:           8
        .value_kind:     hidden_global_offset_y
      - .offset:         144
        .size:           8
        .value_kind:     hidden_global_offset_z
      - .offset:         152
        .size:           2
        .value_kind:     hidden_grid_dims
    .group_segment_fixed_size: 0
    .kernarg_segment_align: 8
    .kernarg_segment_size: 344
    .language:       OpenCL C
    .language_version:
      - 2
      - 0
    .max_flat_workgroup_size: 512
    .name:           _ZL20rocblas_tpmvc_kernelILi512EPKPKfPKPfS4_EvbbiT0_llT1_lllT2_li
    .private_segment_fixed_size: 0
    .sgpr_count:     31
    .sgpr_spill_count: 0
    .symbol:         _ZL20rocblas_tpmvc_kernelILi512EPKPKfPKPfS4_EvbbiT0_llT1_lllT2_li.kd
    .uniform_work_group_size: 1
    .uses_dynamic_stack: false
    .vgpr_count:     14
    .vgpr_spill_count: 0
    .wavefront_size: 64
  - .agpr_count:     0
    .args:
      - .offset:         0
        .size:           1
        .value_kind:     by_value
      - .offset:         1
        .size:           1
        .value_kind:     by_value
      - .offset:         4
        .size:           4
        .value_kind:     by_value
      - .address_space:  global
        .offset:         8
        .size:           8
        .value_kind:     global_buffer
      - .offset:         16
        .size:           8
        .value_kind:     by_value
      - .offset:         24
        .size:           8
        .value_kind:     by_value
      - .address_space:  global
        .offset:         32
        .size:           8
        .value_kind:     global_buffer
      - .offset:         40
        .size:           8
        .value_kind:     by_value
      - .offset:         48
        .size:           8
        .value_kind:     by_value
      - .offset:         56
        .size:           8
        .value_kind:     by_value
      - .address_space:  global
        .offset:         64
        .size:           8
        .value_kind:     global_buffer
      - .offset:         72
        .size:           8
        .value_kind:     by_value
      - .offset:         80
        .size:           4
        .value_kind:     by_value
      - .offset:         88
        .size:           4
        .value_kind:     hidden_block_count_x
      - .offset:         92
        .size:           4
        .value_kind:     hidden_block_count_y
      - .offset:         96
        .size:           4
        .value_kind:     hidden_block_count_z
      - .offset:         100
        .size:           2
        .value_kind:     hidden_group_size_x
      - .offset:         102
        .size:           2
        .value_kind:     hidden_group_size_y
      - .offset:         104
        .size:           2
        .value_kind:     hidden_group_size_z
      - .offset:         106
        .size:           2
        .value_kind:     hidden_remainder_x
      - .offset:         108
        .size:           2
        .value_kind:     hidden_remainder_y
      - .offset:         110
        .size:           2
        .value_kind:     hidden_remainder_z
      - .offset:         128
        .size:           8
        .value_kind:     hidden_global_offset_x
      - .offset:         136
        .size:           8
        .value_kind:     hidden_global_offset_y
      - .offset:         144
        .size:           8
        .value_kind:     hidden_global_offset_z
      - .offset:         152
        .size:           2
        .value_kind:     hidden_grid_dims
    .group_segment_fixed_size: 0
    .kernarg_segment_align: 8
    .kernarg_segment_size: 344
    .language:       OpenCL C
    .language_version:
      - 2
      - 0
    .max_flat_workgroup_size: 512
    .name:           _ZL20rocblas_tpmvn_kernelILi512EPKPKdPKPdS4_EvbbiT0_llT1_lllT2_li
    .private_segment_fixed_size: 0
    .sgpr_count:     40
    .sgpr_spill_count: 0
    .symbol:         _ZL20rocblas_tpmvn_kernelILi512EPKPKdPKPdS4_EvbbiT0_llT1_lllT2_li.kd
    .uniform_work_group_size: 1
    .uses_dynamic_stack: false
    .vgpr_count:     19
    .vgpr_spill_count: 0
    .wavefront_size: 64
  - .agpr_count:     0
    .args:
      - .offset:         0
        .size:           1
        .value_kind:     by_value
      - .offset:         1
        .size:           1
        .value_kind:     by_value
      - .offset:         4
        .size:           4
        .value_kind:     by_value
      - .address_space:  global
        .offset:         8
        .size:           8
        .value_kind:     global_buffer
      - .offset:         16
        .size:           8
        .value_kind:     by_value
      - .offset:         24
        .size:           8
        .value_kind:     by_value
      - .address_space:  global
        .offset:         32
        .size:           8
        .value_kind:     global_buffer
      - .offset:         40
        .size:           8
        .value_kind:     by_value
      - .offset:         48
        .size:           8
        .value_kind:     by_value
      - .offset:         56
        .size:           8
        .value_kind:     by_value
      - .address_space:  global
        .offset:         64
        .size:           8
        .value_kind:     global_buffer
      - .offset:         72
        .size:           8
        .value_kind:     by_value
      - .offset:         80
        .size:           4
        .value_kind:     by_value
      - .offset:         88
        .size:           4
        .value_kind:     hidden_block_count_x
      - .offset:         92
        .size:           4
        .value_kind:     hidden_block_count_y
      - .offset:         96
        .size:           4
        .value_kind:     hidden_block_count_z
      - .offset:         100
        .size:           2
        .value_kind:     hidden_group_size_x
      - .offset:         102
        .size:           2
        .value_kind:     hidden_group_size_y
      - .offset:         104
        .size:           2
        .value_kind:     hidden_group_size_z
      - .offset:         106
        .size:           2
        .value_kind:     hidden_remainder_x
      - .offset:         108
        .size:           2
        .value_kind:     hidden_remainder_y
      - .offset:         110
        .size:           2
        .value_kind:     hidden_remainder_z
      - .offset:         128
        .size:           8
        .value_kind:     hidden_global_offset_x
      - .offset:         136
        .size:           8
        .value_kind:     hidden_global_offset_y
      - .offset:         144
        .size:           8
        .value_kind:     hidden_global_offset_z
      - .offset:         152
        .size:           2
        .value_kind:     hidden_grid_dims
    .group_segment_fixed_size: 0
    .kernarg_segment_align: 8
    .kernarg_segment_size: 344
    .language:       OpenCL C
    .language_version:
      - 2
      - 0
    .max_flat_workgroup_size: 512
    .name:           _ZL20rocblas_tpmvt_kernelILi512EPKPKdPKPdS4_EvbbiT0_llT1_lllT2_li
    .private_segment_fixed_size: 0
    .sgpr_count:     31
    .sgpr_spill_count: 0
    .symbol:         _ZL20rocblas_tpmvt_kernelILi512EPKPKdPKPdS4_EvbbiT0_llT1_lllT2_li.kd
    .uniform_work_group_size: 1
    .uses_dynamic_stack: false
    .vgpr_count:     16
    .vgpr_spill_count: 0
    .wavefront_size: 64
  - .agpr_count:     0
    .args:
      - .offset:         0
        .size:           1
        .value_kind:     by_value
      - .offset:         1
        .size:           1
        .value_kind:     by_value
      - .offset:         4
        .size:           4
        .value_kind:     by_value
      - .address_space:  global
        .offset:         8
        .size:           8
        .value_kind:     global_buffer
      - .offset:         16
        .size:           8
        .value_kind:     by_value
      - .offset:         24
        .size:           8
        .value_kind:     by_value
      - .address_space:  global
        .offset:         32
        .size:           8
        .value_kind:     global_buffer
      - .offset:         40
        .size:           8
        .value_kind:     by_value
      - .offset:         48
        .size:           8
        .value_kind:     by_value
      - .offset:         56
        .size:           8
        .value_kind:     by_value
      - .address_space:  global
        .offset:         64
        .size:           8
        .value_kind:     global_buffer
      - .offset:         72
        .size:           8
        .value_kind:     by_value
      - .offset:         80
        .size:           4
        .value_kind:     by_value
      - .offset:         88
        .size:           4
        .value_kind:     hidden_block_count_x
      - .offset:         92
        .size:           4
        .value_kind:     hidden_block_count_y
      - .offset:         96
        .size:           4
        .value_kind:     hidden_block_count_z
      - .offset:         100
        .size:           2
        .value_kind:     hidden_group_size_x
      - .offset:         102
        .size:           2
        .value_kind:     hidden_group_size_y
      - .offset:         104
        .size:           2
        .value_kind:     hidden_group_size_z
      - .offset:         106
        .size:           2
        .value_kind:     hidden_remainder_x
      - .offset:         108
        .size:           2
        .value_kind:     hidden_remainder_y
      - .offset:         110
        .size:           2
        .value_kind:     hidden_remainder_z
      - .offset:         128
        .size:           8
        .value_kind:     hidden_global_offset_x
      - .offset:         136
        .size:           8
        .value_kind:     hidden_global_offset_y
      - .offset:         144
        .size:           8
        .value_kind:     hidden_global_offset_z
      - .offset:         152
        .size:           2
        .value_kind:     hidden_grid_dims
    .group_segment_fixed_size: 0
    .kernarg_segment_align: 8
    .kernarg_segment_size: 344
    .language:       OpenCL C
    .language_version:
      - 2
      - 0
    .max_flat_workgroup_size: 512
    .name:           _ZL20rocblas_tpmvc_kernelILi512EPKPKdPKPdS4_EvbbiT0_llT1_lllT2_li
    .private_segment_fixed_size: 0
    .sgpr_count:     31
    .sgpr_spill_count: 0
    .symbol:         _ZL20rocblas_tpmvc_kernelILi512EPKPKdPKPdS4_EvbbiT0_llT1_lllT2_li.kd
    .uniform_work_group_size: 1
    .uses_dynamic_stack: false
    .vgpr_count:     16
    .vgpr_spill_count: 0
    .wavefront_size: 64
  - .agpr_count:     0
    .args:
      - .offset:         0
        .size:           1
        .value_kind:     by_value
      - .offset:         1
        .size:           1
        .value_kind:     by_value
      - .offset:         4
        .size:           4
        .value_kind:     by_value
      - .address_space:  global
        .offset:         8
        .size:           8
        .value_kind:     global_buffer
      - .offset:         16
        .size:           8
        .value_kind:     by_value
      - .offset:         24
        .size:           8
        .value_kind:     by_value
      - .address_space:  global
        .offset:         32
        .size:           8
        .value_kind:     global_buffer
      - .offset:         40
        .size:           8
        .value_kind:     by_value
      - .offset:         48
        .size:           8
        .value_kind:     by_value
      - .offset:         56
        .size:           8
        .value_kind:     by_value
      - .address_space:  global
        .offset:         64
        .size:           8
        .value_kind:     global_buffer
      - .offset:         72
        .size:           8
        .value_kind:     by_value
      - .offset:         80
        .size:           4
        .value_kind:     by_value
      - .offset:         88
        .size:           4
        .value_kind:     hidden_block_count_x
      - .offset:         92
        .size:           4
        .value_kind:     hidden_block_count_y
      - .offset:         96
        .size:           4
        .value_kind:     hidden_block_count_z
      - .offset:         100
        .size:           2
        .value_kind:     hidden_group_size_x
      - .offset:         102
        .size:           2
        .value_kind:     hidden_group_size_y
      - .offset:         104
        .size:           2
        .value_kind:     hidden_group_size_z
      - .offset:         106
        .size:           2
        .value_kind:     hidden_remainder_x
      - .offset:         108
        .size:           2
        .value_kind:     hidden_remainder_y
      - .offset:         110
        .size:           2
        .value_kind:     hidden_remainder_z
      - .offset:         128
        .size:           8
        .value_kind:     hidden_global_offset_x
      - .offset:         136
        .size:           8
        .value_kind:     hidden_global_offset_y
      - .offset:         144
        .size:           8
        .value_kind:     hidden_global_offset_z
      - .offset:         152
        .size:           2
        .value_kind:     hidden_grid_dims
    .group_segment_fixed_size: 0
    .kernarg_segment_align: 8
    .kernarg_segment_size: 344
    .language:       OpenCL C
    .language_version:
      - 2
      - 0
    .max_flat_workgroup_size: 512
    .name:           _ZL20rocblas_tpmvn_kernelILi512EPKPK19rocblas_complex_numIfEPKPS1_S6_EvbbiT0_llT1_lllT2_li
    .private_segment_fixed_size: 0
    .sgpr_count:     40
    .sgpr_spill_count: 0
    .symbol:         _ZL20rocblas_tpmvn_kernelILi512EPKPK19rocblas_complex_numIfEPKPS1_S6_EvbbiT0_llT1_lllT2_li.kd
    .uniform_work_group_size: 1
    .uses_dynamic_stack: false
    .vgpr_count:     19
    .vgpr_spill_count: 0
    .wavefront_size: 64
  - .agpr_count:     0
    .args:
      - .offset:         0
        .size:           1
        .value_kind:     by_value
      - .offset:         1
        .size:           1
        .value_kind:     by_value
      - .offset:         4
        .size:           4
        .value_kind:     by_value
      - .address_space:  global
        .offset:         8
        .size:           8
        .value_kind:     global_buffer
      - .offset:         16
        .size:           8
        .value_kind:     by_value
      - .offset:         24
        .size:           8
        .value_kind:     by_value
      - .address_space:  global
        .offset:         32
        .size:           8
        .value_kind:     global_buffer
      - .offset:         40
        .size:           8
        .value_kind:     by_value
      - .offset:         48
        .size:           8
        .value_kind:     by_value
      - .offset:         56
        .size:           8
        .value_kind:     by_value
      - .address_space:  global
        .offset:         64
        .size:           8
        .value_kind:     global_buffer
      - .offset:         72
        .size:           8
        .value_kind:     by_value
      - .offset:         80
        .size:           4
        .value_kind:     by_value
      - .offset:         88
        .size:           4
        .value_kind:     hidden_block_count_x
      - .offset:         92
        .size:           4
        .value_kind:     hidden_block_count_y
      - .offset:         96
        .size:           4
        .value_kind:     hidden_block_count_z
      - .offset:         100
        .size:           2
        .value_kind:     hidden_group_size_x
      - .offset:         102
        .size:           2
        .value_kind:     hidden_group_size_y
      - .offset:         104
        .size:           2
        .value_kind:     hidden_group_size_z
      - .offset:         106
        .size:           2
        .value_kind:     hidden_remainder_x
      - .offset:         108
        .size:           2
        .value_kind:     hidden_remainder_y
      - .offset:         110
        .size:           2
        .value_kind:     hidden_remainder_z
      - .offset:         128
        .size:           8
        .value_kind:     hidden_global_offset_x
      - .offset:         136
        .size:           8
        .value_kind:     hidden_global_offset_y
      - .offset:         144
        .size:           8
        .value_kind:     hidden_global_offset_z
      - .offset:         152
        .size:           2
        .value_kind:     hidden_grid_dims
    .group_segment_fixed_size: 0
    .kernarg_segment_align: 8
    .kernarg_segment_size: 344
    .language:       OpenCL C
    .language_version:
      - 2
      - 0
    .max_flat_workgroup_size: 512
    .name:           _ZL20rocblas_tpmvt_kernelILi512EPKPK19rocblas_complex_numIfEPKPS1_S6_EvbbiT0_llT1_lllT2_li
    .private_segment_fixed_size: 0
    .sgpr_count:     31
    .sgpr_spill_count: 0
    .symbol:         _ZL20rocblas_tpmvt_kernelILi512EPKPK19rocblas_complex_numIfEPKPS1_S6_EvbbiT0_llT1_lllT2_li.kd
    .uniform_work_group_size: 1
    .uses_dynamic_stack: false
    .vgpr_count:     17
    .vgpr_spill_count: 0
    .wavefront_size: 64
  - .agpr_count:     0
    .args:
      - .offset:         0
        .size:           1
        .value_kind:     by_value
      - .offset:         1
        .size:           1
        .value_kind:     by_value
      - .offset:         4
        .size:           4
        .value_kind:     by_value
      - .address_space:  global
        .offset:         8
        .size:           8
        .value_kind:     global_buffer
      - .offset:         16
        .size:           8
        .value_kind:     by_value
      - .offset:         24
        .size:           8
        .value_kind:     by_value
      - .address_space:  global
        .offset:         32
        .size:           8
        .value_kind:     global_buffer
      - .offset:         40
        .size:           8
        .value_kind:     by_value
      - .offset:         48
        .size:           8
        .value_kind:     by_value
      - .offset:         56
        .size:           8
        .value_kind:     by_value
      - .address_space:  global
        .offset:         64
        .size:           8
        .value_kind:     global_buffer
      - .offset:         72
        .size:           8
        .value_kind:     by_value
      - .offset:         80
        .size:           4
        .value_kind:     by_value
      - .offset:         88
        .size:           4
        .value_kind:     hidden_block_count_x
      - .offset:         92
        .size:           4
        .value_kind:     hidden_block_count_y
      - .offset:         96
        .size:           4
        .value_kind:     hidden_block_count_z
      - .offset:         100
        .size:           2
        .value_kind:     hidden_group_size_x
      - .offset:         102
        .size:           2
        .value_kind:     hidden_group_size_y
      - .offset:         104
        .size:           2
        .value_kind:     hidden_group_size_z
      - .offset:         106
        .size:           2
        .value_kind:     hidden_remainder_x
      - .offset:         108
        .size:           2
        .value_kind:     hidden_remainder_y
      - .offset:         110
        .size:           2
        .value_kind:     hidden_remainder_z
      - .offset:         128
        .size:           8
        .value_kind:     hidden_global_offset_x
      - .offset:         136
        .size:           8
        .value_kind:     hidden_global_offset_y
      - .offset:         144
        .size:           8
        .value_kind:     hidden_global_offset_z
      - .offset:         152
        .size:           2
        .value_kind:     hidden_grid_dims
    .group_segment_fixed_size: 0
    .kernarg_segment_align: 8
    .kernarg_segment_size: 344
    .language:       OpenCL C
    .language_version:
      - 2
      - 0
    .max_flat_workgroup_size: 512
    .name:           _ZL20rocblas_tpmvc_kernelILi512EPKPK19rocblas_complex_numIfEPKPS1_S6_EvbbiT0_llT1_lllT2_li
    .private_segment_fixed_size: 0
    .sgpr_count:     31
    .sgpr_spill_count: 0
    .symbol:         _ZL20rocblas_tpmvc_kernelILi512EPKPK19rocblas_complex_numIfEPKPS1_S6_EvbbiT0_llT1_lllT2_li.kd
    .uniform_work_group_size: 1
    .uses_dynamic_stack: false
    .vgpr_count:     18
    .vgpr_spill_count: 0
    .wavefront_size: 64
  - .agpr_count:     0
    .args:
      - .offset:         0
        .size:           1
        .value_kind:     by_value
      - .offset:         1
        .size:           1
        .value_kind:     by_value
      - .offset:         4
        .size:           4
        .value_kind:     by_value
      - .address_space:  global
        .offset:         8
        .size:           8
        .value_kind:     global_buffer
      - .offset:         16
        .size:           8
        .value_kind:     by_value
      - .offset:         24
        .size:           8
        .value_kind:     by_value
      - .address_space:  global
        .offset:         32
        .size:           8
        .value_kind:     global_buffer
      - .offset:         40
        .size:           8
        .value_kind:     by_value
      - .offset:         48
        .size:           8
        .value_kind:     by_value
      - .offset:         56
        .size:           8
        .value_kind:     by_value
      - .address_space:  global
        .offset:         64
        .size:           8
        .value_kind:     global_buffer
      - .offset:         72
        .size:           8
        .value_kind:     by_value
      - .offset:         80
        .size:           4
        .value_kind:     by_value
      - .offset:         88
        .size:           4
        .value_kind:     hidden_block_count_x
      - .offset:         92
        .size:           4
        .value_kind:     hidden_block_count_y
      - .offset:         96
        .size:           4
        .value_kind:     hidden_block_count_z
      - .offset:         100
        .size:           2
        .value_kind:     hidden_group_size_x
      - .offset:         102
        .size:           2
        .value_kind:     hidden_group_size_y
      - .offset:         104
        .size:           2
        .value_kind:     hidden_group_size_z
      - .offset:         106
        .size:           2
        .value_kind:     hidden_remainder_x
      - .offset:         108
        .size:           2
        .value_kind:     hidden_remainder_y
      - .offset:         110
        .size:           2
        .value_kind:     hidden_remainder_z
      - .offset:         128
        .size:           8
        .value_kind:     hidden_global_offset_x
      - .offset:         136
        .size:           8
        .value_kind:     hidden_global_offset_y
      - .offset:         144
        .size:           8
        .value_kind:     hidden_global_offset_z
      - .offset:         152
        .size:           2
        .value_kind:     hidden_grid_dims
    .group_segment_fixed_size: 0
    .kernarg_segment_align: 8
    .kernarg_segment_size: 344
    .language:       OpenCL C
    .language_version:
      - 2
      - 0
    .max_flat_workgroup_size: 512
    .name:           _ZL20rocblas_tpmvn_kernelILi512EPKPK19rocblas_complex_numIdEPKPS1_S6_EvbbiT0_llT1_lllT2_li
    .private_segment_fixed_size: 0
    .sgpr_count:     44
    .sgpr_spill_count: 0
    .symbol:         _ZL20rocblas_tpmvn_kernelILi512EPKPK19rocblas_complex_numIdEPKPS1_S6_EvbbiT0_llT1_lllT2_li.kd
    .uniform_work_group_size: 1
    .uses_dynamic_stack: false
    .vgpr_count:     26
    .vgpr_spill_count: 0
    .wavefront_size: 64
  - .agpr_count:     0
    .args:
      - .offset:         0
        .size:           1
        .value_kind:     by_value
      - .offset:         1
        .size:           1
        .value_kind:     by_value
      - .offset:         4
        .size:           4
        .value_kind:     by_value
      - .address_space:  global
        .offset:         8
        .size:           8
        .value_kind:     global_buffer
      - .offset:         16
        .size:           8
        .value_kind:     by_value
      - .offset:         24
        .size:           8
        .value_kind:     by_value
      - .address_space:  global
        .offset:         32
        .size:           8
        .value_kind:     global_buffer
      - .offset:         40
        .size:           8
        .value_kind:     by_value
      - .offset:         48
        .size:           8
        .value_kind:     by_value
      - .offset:         56
        .size:           8
        .value_kind:     by_value
      - .address_space:  global
        .offset:         64
        .size:           8
        .value_kind:     global_buffer
      - .offset:         72
        .size:           8
        .value_kind:     by_value
      - .offset:         80
        .size:           4
        .value_kind:     by_value
      - .offset:         88
        .size:           4
        .value_kind:     hidden_block_count_x
      - .offset:         92
        .size:           4
        .value_kind:     hidden_block_count_y
      - .offset:         96
        .size:           4
        .value_kind:     hidden_block_count_z
      - .offset:         100
        .size:           2
        .value_kind:     hidden_group_size_x
      - .offset:         102
        .size:           2
        .value_kind:     hidden_group_size_y
      - .offset:         104
        .size:           2
        .value_kind:     hidden_group_size_z
      - .offset:         106
        .size:           2
        .value_kind:     hidden_remainder_x
      - .offset:         108
        .size:           2
        .value_kind:     hidden_remainder_y
      - .offset:         110
        .size:           2
        .value_kind:     hidden_remainder_z
      - .offset:         128
        .size:           8
        .value_kind:     hidden_global_offset_x
      - .offset:         136
        .size:           8
        .value_kind:     hidden_global_offset_y
      - .offset:         144
        .size:           8
        .value_kind:     hidden_global_offset_z
      - .offset:         152
        .size:           2
        .value_kind:     hidden_grid_dims
    .group_segment_fixed_size: 0
    .kernarg_segment_align: 8
    .kernarg_segment_size: 344
    .language:       OpenCL C
    .language_version:
      - 2
      - 0
    .max_flat_workgroup_size: 512
    .name:           _ZL20rocblas_tpmvt_kernelILi512EPKPK19rocblas_complex_numIdEPKPS1_S6_EvbbiT0_llT1_lllT2_li
    .private_segment_fixed_size: 0
    .sgpr_count:     31
    .sgpr_spill_count: 0
    .symbol:         _ZL20rocblas_tpmvt_kernelILi512EPKPK19rocblas_complex_numIdEPKPS1_S6_EvbbiT0_llT1_lllT2_li.kd
    .uniform_work_group_size: 1
    .uses_dynamic_stack: false
    .vgpr_count:     26
    .vgpr_spill_count: 0
    .wavefront_size: 64
  - .agpr_count:     0
    .args:
      - .offset:         0
        .size:           1
        .value_kind:     by_value
      - .offset:         1
        .size:           1
        .value_kind:     by_value
      - .offset:         4
        .size:           4
        .value_kind:     by_value
      - .address_space:  global
        .offset:         8
        .size:           8
        .value_kind:     global_buffer
      - .offset:         16
        .size:           8
        .value_kind:     by_value
      - .offset:         24
        .size:           8
        .value_kind:     by_value
      - .address_space:  global
        .offset:         32
        .size:           8
        .value_kind:     global_buffer
      - .offset:         40
        .size:           8
        .value_kind:     by_value
      - .offset:         48
        .size:           8
        .value_kind:     by_value
      - .offset:         56
        .size:           8
        .value_kind:     by_value
      - .address_space:  global
        .offset:         64
        .size:           8
        .value_kind:     global_buffer
      - .offset:         72
        .size:           8
        .value_kind:     by_value
      - .offset:         80
        .size:           4
        .value_kind:     by_value
      - .offset:         88
        .size:           4
        .value_kind:     hidden_block_count_x
      - .offset:         92
        .size:           4
        .value_kind:     hidden_block_count_y
      - .offset:         96
        .size:           4
        .value_kind:     hidden_block_count_z
      - .offset:         100
        .size:           2
        .value_kind:     hidden_group_size_x
      - .offset:         102
        .size:           2
        .value_kind:     hidden_group_size_y
      - .offset:         104
        .size:           2
        .value_kind:     hidden_group_size_z
      - .offset:         106
        .size:           2
        .value_kind:     hidden_remainder_x
      - .offset:         108
        .size:           2
        .value_kind:     hidden_remainder_y
      - .offset:         110
        .size:           2
        .value_kind:     hidden_remainder_z
      - .offset:         128
        .size:           8
        .value_kind:     hidden_global_offset_x
      - .offset:         136
        .size:           8
        .value_kind:     hidden_global_offset_y
      - .offset:         144
        .size:           8
        .value_kind:     hidden_global_offset_z
      - .offset:         152
        .size:           2
        .value_kind:     hidden_grid_dims
    .group_segment_fixed_size: 0
    .kernarg_segment_align: 8
    .kernarg_segment_size: 344
    .language:       OpenCL C
    .language_version:
      - 2
      - 0
    .max_flat_workgroup_size: 512
    .name:           _ZL20rocblas_tpmvc_kernelILi512EPKPK19rocblas_complex_numIdEPKPS1_S6_EvbbiT0_llT1_lllT2_li
    .private_segment_fixed_size: 0
    .sgpr_count:     31
    .sgpr_spill_count: 0
    .symbol:         _ZL20rocblas_tpmvc_kernelILi512EPKPK19rocblas_complex_numIdEPKPS1_S6_EvbbiT0_llT1_lllT2_li.kd
    .uniform_work_group_size: 1
    .uses_dynamic_stack: false
    .vgpr_count:     26
    .vgpr_spill_count: 0
    .wavefront_size: 64
amdhsa.target:   amdgcn-amd-amdhsa--gfx90a
amdhsa.version:
  - 1
  - 2
...

	.end_amdgpu_metadata
